;; amdgpu-corpus repo=ROCm/Tensile kind=harvested arch=n/a opt=n/a

/******************************************/
/* Function Prefix                        */
/******************************************/



/******************************************/
/* Begin Kernel                           */
/******************************************/

// Component.Signature.SignatureDefault
.amdgcn_target "amdgcn-amd-amdhsa--gfx908"
.text
.protected Cijk_Ailk_Bljk_SB_MT192x64x16_MI32x32x2x1_SE_1LDSB0_APM1_AF0EM1_AF1EM1_AMAS0_ASE_ASAE01_ASCE01_ASEM1_BL1_DTLA0_DTLB0_DVO0_EPS0_FL0_GLVWA4_GLVWB4_GRVW4_GSU1_GSUASB_ISA908_IU1_K1_KLA_LBSPPA0_LBSPPB128_LPA0_LPB4_LDL1_LRVW2_LDW0_MAC_MDA2_MMFGLC_NTC0_NTD0_NEPBS0_NLCA3_NLCB1_ONLL1_OPLV0_PK0_PAP0_PGR2_PLR9_SIA3_SS0_SU0_SUM0_SUS0_SPO0_SRVW0_SSO0_SVW4_SNLL0_TT3_32_TLDS1_UMLDSA0_UMLDSB1_USFGROn1_VAW1_VSn1_VW1_VWB1_WSGRA1_WSGRB1_WG64_4_1_WGM1
.globl Cijk_Ailk_Bljk_SB_MT192x64x16_MI32x32x2x1_SE_1LDSB0_APM1_AF0EM1_AF1EM1_AMAS0_ASE_ASAE01_ASCE01_ASEM1_BL1_DTLA0_DTLB0_DVO0_EPS0_FL0_GLVWA4_GLVWB4_GRVW4_GSU1_GSUASB_ISA908_IU1_K1_KLA_LBSPPA0_LBSPPB128_LPA0_LPB4_LDL1_LRVW2_LDW0_MAC_MDA2_MMFGLC_NTC0_NTD0_NEPBS0_NLCA3_NLCB1_ONLL1_OPLV0_PK0_PAP0_PGR2_PLR9_SIA3_SS0_SU0_SUM0_SUS0_SPO0_SRVW0_SSO0_SVW4_SNLL0_TT3_32_TLDS1_UMLDSA0_UMLDSB1_USFGROn1_VAW1_VSn1_VW1_VWB1_WSGRA1_WSGRB1_WG64_4_1_WGM1
.p2align 8
.type Cijk_Ailk_Bljk_SB_MT192x64x16_MI32x32x2x1_SE_1LDSB0_APM1_AF0EM1_AF1EM1_AMAS0_ASE_ASAE01_ASCE01_ASEM1_BL1_DTLA0_DTLB0_DVO0_EPS0_FL0_GLVWA4_GLVWB4_GRVW4_GSU1_GSUASB_ISA908_IU1_K1_KLA_LBSPPA0_LBSPPB128_LPA0_LPB4_LDL1_LRVW2_LDW0_MAC_MDA2_MMFGLC_NTC0_NTD0_NEPBS0_NLCA3_NLCB1_ONLL1_OPLV0_PK0_PAP0_PGR2_PLR9_SIA3_SS0_SU0_SUM0_SUS0_SPO0_SRVW0_SSO0_SVW4_SNLL0_TT3_32_TLDS1_UMLDSA0_UMLDSB1_USFGROn1_VAW1_VSn1_VW1_VWB1_WSGRA1_WSGRB1_WG64_4_1_WGM1,@function
.section .rodata,#alloc
.p2align 6
.amdhsa_kernel Cijk_Ailk_Bljk_SB_MT192x64x16_MI32x32x2x1_SE_1LDSB0_APM1_AF0EM1_AF1EM1_AMAS0_ASE_ASAE01_ASCE01_ASEM1_BL1_DTLA0_DTLB0_DVO0_EPS0_FL0_GLVWA4_GLVWB4_GRVW4_GSU1_GSUASB_ISA908_IU1_K1_KLA_LBSPPA0_LBSPPB128_LPA0_LPB4_LDL1_LRVW2_LDW0_MAC_MDA2_MMFGLC_NTC0_NTD0_NEPBS0_NLCA3_NLCB1_ONLL1_OPLV0_PK0_PAP0_PGR2_PLR9_SIA3_SS0_SU0_SUM0_SUS0_SPO0_SRVW0_SSO0_SVW4_SNLL0_TT3_32_TLDS1_UMLDSA0_UMLDSB1_USFGROn1_VAW1_VSn1_VW1_VWB1_WSGRA1_WSGRB1_WG64_4_1_WGM1
  .amdhsa_user_sgpr_kernarg_segment_ptr 1
  .amdhsa_user_sgpr_count 2
  .amdhsa_next_free_vgpr 256 // vgprs
  .amdhsa_next_free_sgpr 58 // sgprs
  .amdhsa_group_segment_fixed_size 49664 // lds bytes
  .amdhsa_private_segment_fixed_size 0
  .amdhsa_system_sgpr_workgroup_id_x 1
  .amdhsa_system_sgpr_workgroup_id_y 1
  .amdhsa_system_sgpr_workgroup_id_z 1
  .amdhsa_system_vgpr_workitem_id 0
  .amdhsa_float_denorm_mode_32 3
  .amdhsa_float_denorm_mode_16_64 3
.end_amdhsa_kernel
.text

/******************************************/
/* Optimizations and Config:              */
/******************************************/
/* ThreadTile= 48 x 1 */
/* SubGroup= 4 x 64 */
/* VectorWidthA=1 */
/* VectorWidthB=1 */
/* GlobalLoadVectorWidthA=4, GlobalLoadVectorWidthB=4 */
/* DirectToLdsA=False */
/* DirectToLdsB=False */
/* UseSgprForGRO=False */
.amdgpu_metadata
---
amdhsa.version:
  - 1
  - 1
amdhsa.target: amdgcn-amd-amdhsa--gfx908
amdhsa.kernels:
  - .name: Cijk_Ailk_Bljk_SB_MT192x64x16_MI32x32x2x1_SE_1LDSB0_APM1_AF0EM1_AF1EM1_AMAS0_ASE_ASAE01_ASCE01_ASEM1_BL1_DTLA0_DTLB0_DVO0_EPS0_FL0_GLVWA4_GLVWB4_GRVW4_GSU1_GSUASB_ISA908_IU1_K1_KLA_LBSPPA0_LBSPPB128_LPA0_LPB4_LDL1_LRVW2_LDW0_MAC_MDA2_MMFGLC_NTC0_NTD0_NEPBS0_NLCA3_NLCB1_ONLL1_OPLV0_PK0_PAP0_PGR2_PLR9_SIA3_SS0_SU0_SUM0_SUS0_SPO0_SRVW0_SSO0_SVW4_SNLL0_TT3_32_TLDS1_UMLDSA0_UMLDSB1_USFGROn1_VAW1_VSn1_VW1_VWB1_WSGRA1_WSGRB1_WG64_4_1_WGM1
    .symbol: 'Cijk_Ailk_Bljk_SB_MT192x64x16_MI32x32x2x1_SE_1LDSB0_APM1_AF0EM1_AF1EM1_AMAS0_ASE_ASAE01_ASCE01_ASEM1_BL1_DTLA0_DTLB0_DVO0_EPS0_FL0_GLVWA4_GLVWB4_GRVW4_GSU1_GSUASB_ISA908_IU1_K1_KLA_LBSPPA0_LBSPPB128_LPA0_LPB4_LDL1_LRVW2_LDW0_MAC_MDA2_MMFGLC_NTC0_NTD0_NEPBS0_NLCA3_NLCB1_ONLL1_OPLV0_PK0_PAP0_PGR2_PLR9_SIA3_SS0_SU0_SUM0_SUS0_SPO0_SRVW0_SSO0_SVW4_SNLL0_TT3_32_TLDS1_UMLDSA0_UMLDSB1_USFGROn1_VAW1_VSn1_VW1_VWB1_WSGRA1_WSGRB1_WG64_4_1_WGM1.kd'
    .language:                   OpenCL C
    .language_version:
      - 2
      - 0
    .args:
      - .name:            Tensor2dSizeA
        .size:            8
        .offset:          0
        .value_kind:      by_value
        .value_type:      u64
      - .name:            Tensor2dSizeB
        .size:            8
        .offset:          8
        .value_kind:      by_value
        .value_type:      u64
      - .name:            AddressD
        .size:            8
        .offset:          16
        .value_kind:      by_value
        .value_type:      u64
      - .name:            AddressC
        .size:            8
        .offset:          24
        .value_kind:      by_value
        .value_type:      u64
      - .name:            AddressA
        .size:            8
        .offset:          32
        .value_kind:      by_value
        .value_type:      u64
      - .name:            AddressB
        .size:            8
        .offset:          40
        .value_kind:      by_value
        .value_type:      u64
      - .name:            Alpha
        .size:            4
        .offset:          48
        .value_kind:      by_value
        .value_type:      u32
      - .name:            Beta
        .size:            4
        .offset:          52
        .value_kind:      by_value
        .value_type:      u32
      - .name:            StridesD
        .size:            8
        .offset:          56
        .value_kind:      by_value
        .value_type:      u64
      - .name:            StridesC
        .size:            8
        .offset:          64
        .value_kind:      by_value
        .value_type:      u64
      - .name:            StridesA
        .size:            8
        .offset:          72
        .value_kind:      by_value
        .value_type:      u64
      - .name:            StridesB
        .size:            8
        .offset:          80
        .value_kind:      by_value
        .value_type:      u64
      - .name:            SizesFree
        .size:            12
        .offset:          88
        .value_kind:      by_value
        .value_type:      u96
      - .name:            SizesSum
        .size:            4
        .offset:          100
        .value_kind:      by_value
        .value_type:      u32
      - .name:            NumWorkGroups0
        .size:            4
        .offset:          104
        .value_kind:      by_value
        .value_type:      u32
      - .name:            NumWorkGroups1
        .size:            4
        .offset:          108
        .value_kind:      by_value
        .value_type:      u32
    .group_segment_fixed_size:   49664
    .kernarg_segment_align:      8
    .kernarg_segment_size:       112
    .max_flat_workgroup_size:    256
    .private_segment_fixed_size: 0
    .sgpr_count:                 58
    .sgpr_spill_count:           0
    .vgpr_count:                 256
    .vgpr_spill_count:           0
    .wavefront_size:             64
...
.end_amdgpu_metadata
Cijk_Ailk_Bljk_SB_MT192x64x16_MI32x32x2x1_SE_1LDSB0_APM1_AF0EM1_AF1EM1_AMAS0_ASE_ASAE01_ASCE01_ASEM1_BL1_DTLA0_DTLB0_DVO0_EPS0_FL0_GLVWA4_GLVWB4_GRVW4_GSU1_GSUASB_ISA908_IU1_K1_KLA_LBSPPA0_LBSPPB128_LPA0_LPB4_LDL1_LRVW2_LDW0_MAC_MDA2_MMFGLC_NTC0_NTD0_NEPBS0_NLCA3_NLCB1_ONLL1_OPLV0_PK0_PAP0_PGR2_PLR9_SIA3_SS0_SU0_SUM0_SUS0_SPO0_SRVW0_SSO0_SVW4_SNLL0_TT3_32_TLDS1_UMLDSA0_UMLDSB1_USFGROn1_VAW1_VSn1_VW1_VWB1_WSGRA1_WSGRB1_WG64_4_1_WGM1:

/******************************************/
/* Asm syntax workarounds                 */
/******************************************/
.macro _v_add_co_u32 dst:req, cc:req, src0:req, src1:req, dpp=
   v_add_co_u32 \dst, \cc, \src0, \src1 \dpp
.endm

.macro _v_add_u32 dst:req, src0:req, src1:req, dpp=
   v_add_u32 \dst, \src0, \src1 \dpp
.endm

.macro _v_add_i32 dst:req, src0:req, src1:req, dpp=
   v_add_i32 \dst, \src0, \src1 \dpp
.endm

.macro _v_addc_co_u32 dst:req, ccOut:req, src0:req, ccIn:req, src1:req, dpp=
   v_addc_co_u32 \dst, \ccOut, \src0, \ccIn, \src1 \dpp
.endm

.macro _v_sub_co_u32 dst:req, cc:req, src0:req, src1:req, dpp=
   v_sub_co_u32 \dst, \cc, \src0, \src1 \dpp
.endm

.macro _v_sub_u32 dst:req, src0:req, src1:req, dpp=
   v_sub_u32 \dst, \src0, \src1 \dpp
.endm

.macro _v_sub_i32 dst:req, src0:req, src1:req, dpp=
   v_sub_i32 \dst, \src0, \src1 \dpp
.endm

.macro _v_add_lshl_u32 dst:req, src0:req, src1:req, shiftCnt:req
    v_add_lshl_u32 \dst, \src0, \src1, \shiftCnt
.endm

.macro _v_lshl_add_u32 dst:req, src0:req, src1:req, shiftCnt:req
    v_lshl_add_u32 \dst, \src0, \src1, \shiftCnt
.endm

.macro _v_lshl_or_b32 dst:req, src0:req, shiftCnt:req, src1:req
    v_lshl_or_b32 \dst, \src0, \shiftCnt, \src1
.endm

.macro _v_dot2acc_f32_f16 dst, src0, src1
v_dot2c_f32_f16 \dst, \src0, \src1
.endm

.macro _v_cmpx_lt_i16 dst, src0, src1=
   v_cmpx_lt_i16 \dst, \src0, \src1 
.endm

.macro _v_cmpx_lt_i32 dst, src0, src1=
   v_cmpx_lt_i32 \dst, \src0, \src1 
.endm

.macro _v_cmpx_lt_i64 dst, src0, src1=
   v_cmpx_lt_i64 \dst, \src0, \src1 
.endm

.macro _v_cmpx_lt_u16 dst, src0, src1=
   v_cmpx_lt_u16 \dst, \src0, \src1 
.endm

.macro _v_cmpx_lt_u32 dst, src0, src1=
   v_cmpx_lt_u32 \dst, \src0, \src1 
.endm

.macro _v_cmpx_lt_u64 dst, src0, src1=
   v_cmpx_lt_u64 \dst, \src0, \src1 
.endm

.macro _v_cmpx_eq_i16 dst, src0, src1=
   v_cmpx_eq_i16 \dst, \src0, \src1 
.endm

.macro _v_cmpx_eq_i32 dst, src0, src1=
   v_cmpx_eq_i32 \dst, \src0, \src1 
.endm

.macro _v_cmpx_eq_i64 dst, src0, src1=
   v_cmpx_eq_i64 \dst, \src0, \src1 
.endm

.macro _v_cmpx_eq_u16 dst, src0, src1=
   v_cmpx_eq_u16 \dst, \src0, \src1 
.endm

.macro _v_cmpx_eq_u32 dst, src0, src1=
   v_cmpx_eq_u32 \dst, \src0, \src1 
.endm

.macro _v_cmpx_eq_u64 dst, src0, src1=
   v_cmpx_eq_u64 \dst, \src0, \src1 
.endm

.macro _v_cmpx_le_i16 dst, src0, src1=
   v_cmpx_le_i16 \dst, \src0, \src1 
.endm

.macro _v_cmpx_le_i32 dst, src0, src1=
   v_cmpx_le_i32 \dst, \src0, \src1 
.endm

.macro _v_cmpx_le_i64 dst, src0, src1=
   v_cmpx_le_i64 \dst, \src0, \src1 
.endm

.macro _v_cmpx_le_u16 dst, src0, src1=
   v_cmpx_le_u16 \dst, \src0, \src1 
.endm

.macro _v_cmpx_le_u32 dst, src0, src1=
   v_cmpx_le_u32 \dst, \src0, \src1 
.endm

.macro _v_cmpx_le_u64 dst, src0, src1=
   v_cmpx_le_u64 \dst, \src0, \src1 
.endm

.macro _v_cmpx_gt_i16 dst, src0, src1=
   v_cmpx_gt_i16 \dst, \src0, \src1 
.endm

.macro _v_cmpx_gt_i32 dst, src0, src1=
   v_cmpx_gt_i32 \dst, \src0, \src1 
.endm

.macro _v_cmpx_gt_i64 dst, src0, src1=
   v_cmpx_gt_i64 \dst, \src0, \src1 
.endm

.macro _v_cmpx_gt_u16 dst, src0, src1=
   v_cmpx_gt_u16 \dst, \src0, \src1 
.endm

.macro _v_cmpx_gt_u32 dst, src0, src1=
   v_cmpx_gt_u32 \dst, \src0, \src1 
.endm

.macro _v_cmpx_gt_u64 dst, src0, src1=
   v_cmpx_gt_u64 \dst, \src0, \src1 
.endm

.macro _v_cmpx_ne_i16 dst, src0, src1=
   v_cmpx_ne_i16 \dst, \src0, \src1 
.endm

.macro _v_cmpx_ne_i32 dst, src0, src1=
   v_cmpx_ne_i32 \dst, \src0, \src1 
.endm

.macro _v_cmpx_ne_i64 dst, src0, src1=
   v_cmpx_ne_i64 \dst, \src0, \src1 
.endm

.macro _v_cmpx_ne_u16 dst, src0, src1=
   v_cmpx_ne_u16 \dst, \src0, \src1 
.endm

.macro _v_cmpx_ne_u32 dst, src0, src1=
   v_cmpx_ne_u32 \dst, \src0, \src1 
.endm

.macro _v_cmpx_ne_u64 dst, src0, src1=
   v_cmpx_ne_u64 \dst, \src0, \src1 
.endm

.macro _v_cmpx_lg_i16 dst, src0, src1=
   v_cmpx_lg_i16 \dst, \src0, \src1 
.endm

.macro _v_cmpx_lg_i32 dst, src0, src1=
   v_cmpx_lg_i32 \dst, \src0, \src1 
.endm

.macro _v_cmpx_lg_i64 dst, src0, src1=
   v_cmpx_lg_i64 \dst, \src0, \src1 
.endm

.macro _v_cmpx_lg_u16 dst, src0, src1=
   v_cmpx_lg_u16 \dst, \src0, \src1 
.endm

.macro _v_cmpx_lg_u32 dst, src0, src1=
   v_cmpx_lg_u32 \dst, \src0, \src1 
.endm

.macro _v_cmpx_lg_u64 dst, src0, src1=
   v_cmpx_lg_u64 \dst, \src0, \src1 
.endm

.macro _v_cmpx_ge_i16 dst, src0, src1=
   v_cmpx_ge_i16 \dst, \src0, \src1 
.endm

.macro _v_cmpx_ge_i32 dst, src0, src1=
   v_cmpx_ge_i32 \dst, \src0, \src1 
.endm

.macro _v_cmpx_ge_i64 dst, src0, src1=
   v_cmpx_ge_i64 \dst, \src0, \src1 
.endm

.macro _v_cmpx_ge_u16 dst, src0, src1=
   v_cmpx_ge_u16 \dst, \src0, \src1 
.endm

.macro _v_cmpx_ge_u32 dst, src0, src1=
   v_cmpx_ge_u32 \dst, \src0, \src1 
.endm

.macro _v_cmpx_ge_u64 dst, src0, src1=
   v_cmpx_ge_u64 \dst, \src0, \src1 
.endm

.macro _v_cmpx_o_i16 dst, src0, src1=
   v_cmpx_o_i16 \dst, \src0, \src1 
.endm

.macro _v_cmpx_o_i32 dst, src0, src1=
   v_cmpx_o_i32 \dst, \src0, \src1 
.endm

.macro _v_cmpx_o_i64 dst, src0, src1=
   v_cmpx_o_i64 \dst, \src0, \src1 
.endm

.macro _v_cmpx_o_u16 dst, src0, src1=
   v_cmpx_o_u16 \dst, \src0, \src1 
.endm

.macro _v_cmpx_o_u32 dst, src0, src1=
   v_cmpx_o_u32 \dst, \src0, \src1 
.endm

.macro _v_cmpx_o_u64 dst, src0, src1=
   v_cmpx_o_u64 \dst, \src0, \src1 
.endm

.macro _v_cmpx_u_i16 dst, src0, src1=
   v_cmpx_u_i16 \dst, \src0, \src1 
.endm

.macro _v_cmpx_u_i32 dst, src0, src1=
   v_cmpx_u_i32 \dst, \src0, \src1 
.endm

.macro _v_cmpx_u_i64 dst, src0, src1=
   v_cmpx_u_i64 \dst, \src0, \src1 
.endm

.macro _v_cmpx_u_u16 dst, src0, src1=
   v_cmpx_u_u16 \dst, \src0, \src1 
.endm

.macro _v_cmpx_u_u32 dst, src0, src1=
   v_cmpx_u_u32 \dst, \src0, \src1 
.endm

.macro _v_cmpx_u_u64 dst, src0, src1=
   v_cmpx_u_u64 \dst, \src0, \src1 
.endm
.macro _v_mac_f32 c:req, a:req, b:req
    v_mac_f32 \c, \a, \b
.endmacro

/* scale global load macros */
.macro _s_load_b32 dst base offset
    s_load_dword \dst \base \offset
.endm

.macro _s_load_b64 dst base offset
    s_load_dwordx2 \dst \base \offset
.endm

.macro _s_load_b128 dst base offset
    s_load_dwordx4 \dst \base \offset
.endm

.macro _s_load_b256 dst base offset
    s_load_dwordx8 \dst \base \offset
.endm

.macro _s_load_b512 dst base offset
    s_load_dwordx16 \dst \base \offset
.endm


/* ds operation macros */
.macro _ds_load_u8 dst src offset
    ds_read_u8 \dst \src \offset
.endm

.macro _ds_load_u8_d16_hi dst src offset
    ds_read_u8_d16_hi \dst \src \offset
.endm

.macro _ds_load_u16 dst src offset
    ds_read_u16 \dst \src \offset
.endm

.macro _ds_load_u16_d16_hi dst src offset
    ds_read_u16_d16_hi \dst \src \offset
.endm

.macro _ds_load_b32 dst src offset
    ds_read_b32 \dst \src \offset
.endm

.macro _ds_load_b64 dst src offset
    ds_read_b64 \dst \src \offset
.endm

.macro _ds_load_b128 dst src offset
    ds_read_b128 \dst \src \offset
.endm

.macro _ds_store_b8 dst src offset
    ds_write_b8 \dst \src \offset
.endm

.macro _ds_store_b8_d16_hi dst src offset
    ds_write_b8_d16_hi \dst \src \offset
.endm

.macro _ds_store_b16 dst src offset
    ds_write_b16 \dst \src \offset
.endm

.macro _ds_store_b16_d16_hi dst src offset
    ds_write_b16_d16_hi \dst \src \offset
.endm

.macro _ds_store_b32 dst src offset
    ds_write_b32 \dst \src \offset
.endm

.macro _ds_store_b64 dst src offset
    ds_write_b64 \dst \src \offset
.endm

.macro _ds_store_b128 dst src offset
    ds_write_b128 \dst \src \offset
.endm

.macro _ds_load2_b32 dst src offset1 offset2
    ds_read2_b32 \dst \src \offset1 \offset2
.endm

.macro _ds_load2_b64 dst src offset1 offset2
    ds_read2_b64 \dst \src \offset1 \offset2
.endm

.macro _ds_store2_b32 dst src offset1 offset2
    ds_write2_b32 \dst \src \offset1 \offset2
.endm

.macro _ds_store2_b64 dst src offset1 offset2
    ds_write2_b64 \dst \src \offset1 \offset2
.endm


/* buffer memory operation macros */
.macro _buffer_load_b32 dst voffset base soffset offen ioffset md0 md1 md2
    buffer_load_dword \dst \voffset \base \soffset \offen \ioffset \md0 \md1 \md2
.endm

.macro _buffer_load_b64 dst voffset base soffset offen ioffset md0 md1 md2
    buffer_load_dwordx2 \dst \voffset \base \soffset \offen \ioffset \md0 \md1 \md2
.endm

.macro _buffer_load_b96 dst voffset base soffset offen ioffset md0 md1 md2
    buffer_load_dwordx3 \dst \voffset \base \soffset \offen \ioffset \md0 \md1 \md2
.endm

.macro _buffer_load_b128 dst voffset base soffset offen ioffset md0 md1 md2
    buffer_load_dwordx4 \dst \voffset \base \soffset \offen \ioffset \md0 \md1 \md2
.endm

.macro _buffer_load_d16_b16 dst voffset base soffset offen ioffset md0 md1 md2
    buffer_load_short_d16 \dst \voffset \base \soffset \offen \ioffset \md0 \md1 \md2
.endm

.macro _buffer_load_d16_hi_b16 dst voffset base soffset offen ioffset md0 md1 md2
    buffer_load_short_d16_hi \dst \voffset \base \soffset \offen \ioffset \md0 \md1 \md2
.endm

.macro _buffer_load_d16_u8 dst voffset base soffset offen ioffset md0 md1 md2
    buffer_load_ubyte_d16 \dst \voffset \base \soffset \offen \ioffset \md0 \md1 \md2
.endm

.macro _buffer_load_d16_hi_u8 dst voffset base soffset offen ioffset md0 md1 md2
    buffer_load_ubyte_d16_hi \dst \voffset \base \soffset \offen \ioffset \md0 \md1 \md2
.endm

.macro _buffer_load_u16 dst voffset base soffset offen ioffset md0 md1 md2
    buffer_load_ushort \dst \voffset \base \soffset \offen \ioffset \md0 \md1 \md2
.endm

.macro _buffer_load_b32_dtl voffset base soffset offen ioffset md0 md1 md2
    buffer_load_dword \voffset \base \soffset \offen \ioffset \md0 \md1 \md2
.endm

.macro _buffer_load_b64_dtl voffset base soffset offen ioffset md0 md1 md2
    buffer_load_dwordx2 \voffset \base \soffset \offen \ioffset \md0 \md1 \md2
.endm

.macro _buffer_load_b128_dtl voffset base soffset offen ioffset md0 md1 md2
    buffer_load_dwordx4 \voffset \base \soffset \offen \ioffset \md0 \md1 \md2
.endm

.macro _buffer_load_u16_dtl voffset base soffset offen ioffset md0 md1 md2
    buffer_load_ushort \voffset \base \soffset \offen \ioffset \md0 \md1 \md2
.endm

.macro _buffer_store_b32 src voffset base soffset offen ioffset md0 md1 md2
    buffer_store_dword \src \voffset \base \soffset \offen \ioffset \md0 \md1 \md2
.endm

.macro _buffer_store_b64 src voffset base soffset offen ioffset md0 md1 md2
    buffer_store_dwordx2 \src \voffset \base \soffset \offen \ioffset \md0 \md1 \md2
.endm

.macro _buffer_store_b96 src voffset base soffset offen ioffset md0 md1 md2
    buffer_store_dwordx3 \src \voffset \base \soffset \offen \ioffset \md0 \md1 \md2
.endm

.macro _buffer_store_b128 src voffset base soffset offen ioffset md0 md1 md2
    buffer_store_dwordx4 \src \voffset \base \soffset \offen \ioffset \md0 \md1 \md2
.endm

.macro _buffer_store_b16 src voffset base soffset offen ioffset md0 md1 md2
    buffer_store_short \src \voffset \base \soffset \offen \ioffset \md0 \md1 \md2
.endm

.macro _buffer_store_d16_hi_b16 src voffset base soffset offen ioffset md0 md1 md2
    buffer_store_short_d16_hi \src \voffset \base \soffset \offen \ioffset \md0 \md1 \md2
.endm

.macro _buffer_store_b8 src voffset base soffset offen ioffset md0 md1 md2
    buffer_store_byte \src \voffset \base \soffset \offen \ioffset \md0 \md1 \md2
.endm

.macro _buffer_store_d16_hi_b8 src voffset base soffset offen ioffset md0 md1 md2
    buffer_store_byte_d16_hi \src \voffset \base \soffset \offen \ioffset \md0 \md1 \md2
.endm

.macro _buffer_atomic_cmpswap_b32 dst voffset base soffset offen ioffset md0 md1 md2
    buffer_atomic_cmpswap \dst \voffset \base \soffset \offen \ioffset \md0 \md1 \md2
.endm

.macro _buffer_atomic_cmpswap_b64 dst voffset base soffset offen ioffset md0 md1 md2
    buffer_atomic_cmpswap_x2 \dst \voffset \base \soffset \offen \ioffset \md0 \md1 \md2
.endm


/* buffer memory operation macros */
.macro _global_load_b32 dst base src ioffset md0 md1 md2
    global_load_dword \dst \base \src \ioffset \md0 \md1 \md2
.endm

.macro _global_load_b64 dst base src ioffset md0 md1 md2
    global_load_dwordx2 \dst \base \src \ioffset \md0 \md1 \md2
.endm

.macro _global_load_b96 dst base src ioffset md0 md1 md2
    global_load_dwordx3 \dst \base \src \ioffset \md0 \md1 \md2
.endm

.macro _global_load_b128 dst base src ioffset md0 md1 md2
    global_load_dwordx4 \dst \base \src \ioffset \md0 \md1 \md2
.endm

.macro _global_load_d16_b16 dst base src ioffset md0 md1 md2
    global_load_short_d16 \dst \base \src \ioffset \md0 \md1 \md2
.endm

.macro _global_load_d16_hi_b16 dst base src ioffset md0 md1 md2
    global_load_short_d16_hi \dst \base \src \ioffset \md0 \md1 \md2
.endm

.macro _global_load_d16_u8 dst base src ioffset md0 md1 md2
    global_load_ubyte_d16 \dst \base \src \ioffset \md0 \md1 \md2
.endm

.macro _global_load_d16_hi_u8 dst base src ioffset md0 md1 md2
    global_load_ubyte_d16_hi \dst \base \src \ioffset \md0 \md1 \md2
.endm

.macro _global_load_u16 dst base src ioffset md0 md1 md2
    global_load_ushort \dst \base \src \ioffset \md0 \md1 \md2
.endm

.macro _global_store_b32 base src src2 md0 md1 md2
    global_store_dword \base \src \src2 \md0 \md1 \md2
.endm

.macro _global_store_b64 base src src2 md0 md1 md2
    global_store_dwordx2 \base \src \src2 \md0 \md1 \md2
.endm

.macro _global_store_b96 base src src2 md0 md1 md2
    global_store_dwordx3 \base \src \src2 \md0 \md1 \md2
.endm

.macro _global_store_b128 base src src2 md0 md1 md2
    global_store_dwordx4 \base \src \src2 \md0 \md1 \md2
.endm

.macro _global_store_d16_b16 base src src2 md0 md1 md2
    global_store_short \base \src \src2 \md0 \md1 \md2
.endm

.macro _global_store_d16_hi_b16 base src src2 md0 md1 md2
    global_store_short_d16_hi \base \src \src2 \md0 \md1 \md2
.endm

.macro _global_store_d16_u8 base src src2 md0 md1 md2
    global_store_ubyte_d16 \base \src \src2 \md0 \md1 \md2
.endm

.macro _global_store_d16_hi_u8 base src src2 md0 md1 md2
    global_store_ubyte_d16_hi \base \src \src2 \md0 \md1 \md2
.endm

.macro _global_store_u16 base src src2 md0 md1 md2
    global_store_ushort \base \src \src2 \md0 \md1 \md2
.endm

.macro _global_atomic_cmpswap_b32 tmp base data src ioffset md
    global_atomic_cmpswap \tmp \base \data \src \ioffset \md
.endm

.macro _global_atomic_cmpswap_b64 tmp base data src ioffset md
    global_atomic_cmpswap_x2 \tmp \base \data \src \ioffset \md
.endm


/******************************************/
/* Magic div and mod functions            */
/******************************************/
.macro V_MAGIC_DIV dstIdx:req, dividend:req, magicNumber:req, magicShift:req, magicA:req
    v_mul_hi_u32 v[\dstIdx+1], \dividend, \magicNumber
    v_mul_lo_u32 v[\dstIdx+0], \dividend, \magicA
    _v_add_u32 v[\dstIdx+0], v[\dstIdx+0], v[\dstIdx+1]
    v_lshrrev_b32 v[\dstIdx+0], \magicShift, v[\dstIdx+0]
.endm

/******************************************/
/* VGPR Assignments                       */
/******************************************/
/* ValuC range: [0-0), serializedStore enabled */
.set vgprValuC, 0
/* ValuA/B   Xn=PLR buffer idx,  In=InnerUnroll idx */
.set vgprValuA_X0_I0, 0
.set vgprValuA_X1_I0, 3
.set vgprValuA_X2_I0, 6
.set vgprValuA_X3_I0, 9
.set vgprValuA_X4_I0, 12
.set vgprValuA_X5_I0, 15
.set vgprValuA_X6_I0, 18
.set vgprValuA_X7_I0, 21
.set vgprG2LA, 38
.set vgprValuB_X0_I0, 24
.set vgprValuB_X1_I0, 25
.set vgprValuB_X2_I0, 26
.set vgprValuB_X3_I0, 27
.set vgprValuB_X4_I0, 28
.set vgprValuB_X5_I0, 29
.set vgprValuB_X6_I0, 30
.set vgprValuB_X7_I0, 31
.set vgprG2LB, 50
.set vgprLocalWriteAddrA, 32
.set vgprLocalWriteAddrB, 33
.set vgprGlobalReadOffsetA, 34
.set vgprGlobalReadOffsetB, 37
.set vgprLocalReadAddrA, 54
.set vgprLocalReadAddrB, 55
.set vgprSerial, 56
/* Num VGPR=256 */
/* Num AccVGPR=48 */

/******************************************/
/* SGPR Assignments                       */
/******************************************/
.set sgprKernArgAddress, 0 // (2)
.set sgprWorkGroup0, 2 // (1)
.set sgprWorkGroup1, 3 // (1)
.set sgprWorkGroup2, 4 // (1)
.set sgprLoopCounterL, 5 // (1)
.set sgprOrigLoopCounter, 6 // (1)
.set sgprSrdA, 8 // (4)
.set sgprSrdB, 12 // (4)
.set sgprSrdD, 16 // (4)
.set sgprSrdC, 20 // (4)
.set sgprTensor2dSizeA, 24 // (2)
.set sgprTensor2dSizeB, 26 // (2)
.set sgprAddressD, 28 // (2)
.set sgprAddressC, 30 // (2)
.set sgprAddressA, 32 // (2)
.set sgprAddressB, 34 // (2)
.set sgprAlpha, 36 // (1)
.set sgprBeta, 37 // (1)
.set sgprStridesD, 38 // (2)
.set sgprStridesC, 40 // (2)
.set sgprStridesA, 42 // (2)
.set sgprStridesB, 44 // (2)
.set sgprSizesFree, 46 // (3)
.set sgprSizesSum, 49 // (1)
.set sgprNumWorkGroups0, 50 // (1)
.set sgprNumWorkGroups1, 51 // (1)
.set sgprShadowLimitA, 0 // (2)
.set sgprShadowLimitB, 28 // (2)
.set sgprGlobalReadIncsA, 7 // (1)
.set sgprGlobalReadIncsB, 30 // (1)
/* max SGPR=58 */

/* Size Assignments */
.set sgprSizeI, sgprSizesFree+0
.set sgprSizeJ, sgprSizesFree+1
.set sgprSizeK, sgprSizesFree+2
.set sgprSizeL, sgprSizesSum+0

/* Stride Assignments */
.set constStrideD0I, 1
.set sgprStrideD1J, sgprStridesD+0
.set sgprStrideDK, sgprStridesD+1
.set constStrideC0I, 1
.set sgprStrideC1J, sgprStridesC+0
.set sgprStrideCK, sgprStridesC+1
.set constStrideA0I, 1
.set sgprStrideAL, sgprStridesA+0
.set sgprStrideAK, sgprStridesA+1
.set constStrideBL, 1
.set sgprStrideB1J, sgprStridesB+0
.set sgprStrideBK, sgprStridesB+1

.set MT0, 192
.set MT1, 64
.set DepthU, 16
.set GSU, 1
.set BpeA, 4
.set BpeALog2, 2
.set BpeB, 4
.set BpeBLog2, 2
/* Number of elements to shift-left SRD */
.set SrdShiftLeftA, 4
.set SrdShiftLeftB, 4
/* 2GB limit - set offsets to -1 to exceed this and clamp */
.set BufferLimitA, 0xffffffff
.set BufferLimitB, 0xffffffff
.set BufferOOB, 0xfffff000

/******************************************/
/* Bits 127:96 of SRD.                    */
/* hex: 0x00020000                        */
/* dst_sel_x (3b): 0                      */
/* dst_sel_y (3b): 0                      */
/* dst_sel_z (3b): 0                      */
/* dst_sel_w (3b): 0                      */
/* num_format (3b): 0                     */
/* data_format (4b): 4                    */
/* user_vm_enable (1b): 0                 */
/* user_vm_mode (1b): 0                   */
/* index_stride (2b): 0                   */
/* add_tid_enable (1b): 0                 */
/* _unusedA (3b): 0                       */
/* nv (1b): 0                             */
/* _unusedB (2b): 0                       */
/* type (2b): 0                           */
/******************************************/
.set Srd127_96, 0x00020000

/* Global Offset A */
.macro GLOBAL_OFFSET_A vgprAddr:req vgprOffset0I:req vgprOffsetL:req vgprTmp:req
v_mul_lo_u32 v[\vgprTmp+0], s[sgprStrideAL], v[\vgprOffsetL] // mul d1 lower
_v_add_co_u32 v[\vgprAddr+0], vcc, v[\vgprOffset0I], v[\vgprTmp+0] // accumulate K lower
_v_add_u32 v[\vgprAddr+0], 0x4, v[\vgprAddr+0]     // add prepad for pointer shift
v_lshlrev_b32 v[\vgprAddr+0], 0x2, v[\vgprAddr+0]  // offset *= bytes/element
.endm

/* Global Offset B */
.macro GLOBAL_OFFSET_B vgprAddr:req vgprOffsetL:req vgprOffset1J:req vgprTmp:req
v_mul_lo_u32 v[\vgprTmp+0], s[sgprStrideB1J], v[\vgprOffset1J] // mul d1 lower
_v_add_co_u32 v[\vgprAddr+0], vcc, v[\vgprOffsetL], v[\vgprTmp+0] // accumulate K lower
_v_add_u32 v[\vgprAddr+0], 0x4, v[\vgprAddr+0]     // add prepad for pointer shift
v_lshlrev_b32 v[\vgprAddr+0], 0x2, v[\vgprAddr+0]  // offset *= bytes/element
.endm

/******************************************/
/* Dynamic Scalar Divide: vQuotient=vDividend/vDivisor; vRemainder=vDividend%vDivisor; */
/******************************************/
.macro DYNAMIC_VECTOR_DIVIDE vQuotient vRemainder vDividend vDivisor vTmp0 vTmp1 sTmp
v_cvt_f32_u32 v[\vQuotient], v[\vDivisor]          // 
v_rcp_f32 v[\vQuotient], v[\vQuotient]             // 
v_mul_f32 v[\vQuotient], 0x4f800000, v[\vQuotient] // 
v_cvt_u32_f32 v[\vQuotient], v[\vQuotient]         // 
v_mul_lo_u32 v[\vRemainder], v[\vDivisor], v[\vQuotient] // 
v_mul_hi_u32 v[\vTmp0], v[\vDivisor], v[\vQuotient] // 
_v_sub_co_u32 v[\vTmp1], vcc, 0x0, v[\vRemainder]  // 
v_cmp_ne_i32 s[\sTmp:\sTmp+1], 0x0, v[\vTmp0]      // 
v_cndmask_b32 v[\vRemainder], v[\vTmp1], v[\vRemainder], s[\sTmp:\sTmp+1] // 
v_mul_hi_u32 v[\vRemainder], v[\vRemainder], v[\vQuotient] // 
_v_sub_co_u32 v[\vTmp0], vcc, v[\vQuotient], v[\vRemainder] // 
_v_add_co_u32 v[\vQuotient], vcc, v[\vQuotient], v[\vRemainder] // 
v_cndmask_b32 v[\vQuotient], v[\vQuotient], v[\vTmp0], s[\sTmp:\sTmp+1] // 
v_mul_hi_u32 v[\vQuotient], v[\vQuotient], v[\vDividend] // 
v_mul_lo_u32 v[\vRemainder], v[\vQuotient], v[\vDivisor] // 
_v_sub_co_u32 v[\vTmp0], vcc, v[\vDividend], v[\vRemainder] // 
v_cmp_ge_u32 s[\sTmp:\sTmp+1], v[\vDividend], v[\vRemainder] // 
_v_add_co_u32 v[\vRemainder], vcc, 0x1, v[\vQuotient] // 
_v_add_co_u32 v[\vTmp1], vcc, -1, v[\vQuotient]    // 
v_cmp_le_u32 vcc, v[\vDivisor], v[\vTmp0]          // 
s_and_b64 vcc, s[\sTmp:\sTmp+1], vcc               // 
v_cndmask_b32 v[\vQuotient], v[\vQuotient], v[\vRemainder], vcc // 
v_cndmask_b32 v[\vQuotient], v[\vTmp1], v[\vQuotient], s[\sTmp:\sTmp+1] // 
v_cmp_ne_i32 vcc, 0x0, v[\vDivisor]                // 
v_cndmask_b32 v[\vQuotient], -1, v[\vQuotient], vcc // final result
v_mul_lo_u32 v[\vRemainder], v[\vQuotient], v[\vDivisor] // 
_v_sub_co_u32 v[\vRemainder], vcc, v[\vDividend], v[\vRemainder] // final result
.endm


	;; [unrolled: 1-line block ×3, first 2 shown]
/******************************************/
/* Allocate Resources                     */
/******************************************/

Cijk_Ailk_Bljk_SB_MT192x64x16_MI32x32x2x1_SE_1LDSB0_APM1_AF0EM1_AF1EM1_AMAS0_ASE_ASAE01_ASCE01_ASEM1_BL1_DTLA0_DTLB0_DVO0_EPS0_FL0_GLVWA4_GLVWB4_GRVW4_GSU1_GSUASB_ISA908_IU1_K1_KLA_LBSPPA0_LBSPPB128_LPA0_LPB4_LDL1_LRVW2_LDW0_MAC_MDA2_MMFGLC_NTC0_NTD0_NEPBS0_NLCA3_NLCB1_ONLL1_OPLV0_PK0_PAP0_PGR2_PLR9_SIA3_SS0_SU0_SUM0_SUS0_SPO0_SRVW0_SSO0_SVW4_SNLL0_TT3_32_TLDS1_UMLDSA0_UMLDSB1_USFGROn1_VAW1_VSn1_VW1_VWB1_WSGRA1_WSGRB1_WG64_4_1_WGM1_preloaded: // Kernel start when preloading

/* Load Kernel Args */
_s_load_b512 s[24:39], s[sgprKernArgAddress:sgprKernArgAddress+1], 0x0 // 
_s_load_b256 s[40:47], s[sgprKernArgAddress:sgprKernArgAddress+1], 0x40 // 
_s_load_b128 s[48:51], s[sgprKernArgAddress:sgprKernArgAddress+1], 0x60 // 
s_mov_b32 m0, 0xc200                               // LDS clamp at 49664 bytes
v_mov_b32 v[vgprSerial], v0                        // thread serial id

/******************************************/
/* Local Read Addresses                   */
/******************************************/


/* local read addresses: tile assignments a/b */

/*lr0I*/
v_and_b32 v1, 63, v[vgprSerial]                    // 0. thread id in wave: wtid = tid % wavelength(64)
v_and_b32 v0, 31, v1                               // 1. N offset: nIdx = wtid % MI_N(32)
                                                   // 1. N offset: nOffset = nIdx * nStride(1) (multiplier is 1, do nothing)
                                                   // 2. block offset: bnIdx = bnIdx % num1DBlocks(1) is 0. do nothing
                                                   // 4. apply VectorWidth: bnOffset = bnOffset * vw(1) (multiplier is 1, do nothing)
v_lshrrev_b32 v1, 5, v1                            // 5. K offset: kIdx = wtid / (MIN(32) * MIBB(1))
s_mov_b32 s7, 0x180                                // 5. K offset: lrKOffset = kIdx * mStride(384)
v_mul_lo_u32 v1, s7, v1                            // 5. K offset: lrKOffset = kIdx * mStride(384)
_v_add_u32 v0, v1, v0                              // 6. offset in wave: lrOffset = bnOffset + lrKOffset
v_lshrrev_b32 v2, 6, v[vgprSerial]                 // 7. wave offset in N dimen: wtid = tid / dividedForWaveId(64)
v_and_b32 v1, 1, v2                                // 7. wave offset in M dimen: wtid0 = wtid / num1DWaves(2)
v_lshlrev_b32 v1, 0x5, v1                          // 7. wave offset in M dimen: wOffset = wtid0 * W0Stride(32)
_v_add_u32 v0, v1, v0                              // 8. final local read offset: flrOffset = lrOffset + WOffset
/*lr1J*/
v_and_b32 v2, 63, v[vgprSerial]                    // 0. thread id in wave: wtid = tid % wavelength(64)
v_and_b32 v1, 31, v2                               // 1. N offset: nIdx = wtid % MI_N(32)
v_lshlrev_b32 v1, 0x4, v1                          // 1. N offset: nOffset = nIdx * nStride(16)
                                                   // 2. block offset: bnIdx = bnIdx % num1DBlocks(1) is 0. do nothing
                                                   // 4. apply VectorWidth: bnOffset = bnOffset * vw(1) (multiplier is 1, do nothing)
v_lshrrev_b32 v2, 5, v2                            // 5. K offset: kIdx = wtid / (MIN(32) * MIBB(1))
v_lshlrev_b32 v2, 0x1, v2                          // 5. K offset: lrKOffset = kIdx * mStride(2)
_v_add_u32 v1, v2, v1                              // 6. offset in wave: lrOffset = bnOffset + lrKOffset
v_lshrrev_b32 v3, 7, v[vgprSerial]                 // 7. wave offset in N dimen: wtid = tid / dividedForWaveId(128)
v_and_b32 v2, 1, v3                                // 7. wave offset in M dimen: wtid0 = wtid / num1DWaves(2)
v_lshlrev_b32 v2, 0x9, v2                          // 7. wave offset in M dimen: wOffset = wtid0 * W0Stride(512)
_v_add_u32 v1, v2, v1                              // 8. final local read offset: flrOffset = lrOffset + WOffset


/* local read addresses: final offsets a */

v_lshlrev_b32 v[vgprLocalReadAddrA], 0x2, v0       // Final Offset: offset = (lro0)*bpe


/* local read addresses: final offsets b */

v_lshlrev_b32 v[vgprLocalReadAddrB], 0x2, v1       // Final Offset: offset = (lro1)*bpe
v_lshrrev_b32 v0, 7, v[vgprLocalReadAddrB]         // Final Offset: padding 4 per block 128
v_lshlrev_b32 v0, 0x4, v0                          // Final Offset: padding 4 per block 128
_v_add_u32 v[vgprLocalReadAddrB], v0, v[vgprLocalReadAddrB] // Final Offset: add padding 4 per block 128


/* local read addresses: declare addresses a */

/* N/A */


/* local read addresses: declare addresses b */

_v_add_co_u32 v[vgprLocalReadAddrB+0], vcc, 0x3000, v[vgprLocalReadAddrB+0] //  += LdsOffsetB (lower)


/* global read addresses: tile offset assignment a */

/* LVCA = 16 */
/* v0 = (local)groA-tile = serial%LVCA (note (wgA*MTA) will be added to SRD) */
/* v1 = groA-unroll = serial/LVCA */
v_and_b32 v2, 63, v[vgprSerial]                    // v2 = v[vgprSerial] % 64
v_lshrrev_b32 v1, 4, v2                            // v1 = v2 / 16
v_and_b32 v0, 15, v2                               // v0 = v2 % 16
v_readfirstlane_b32 s52, v[vgprSerial]             // WaveIdxWavefrontWidth
s_lshr_b32 s52, s52, 0x6                           // WaveId
s_mul_i32 s52, s52, 4                              // Global Read Wave: each wave loads continuous lsp(4)*nrp(1) columns
_v_add_u32 v1, s52, v1                             // Global Read Wave: add back to column index
/* gro-tile *= glvw */
v_lshlrev_b32 v0, 0x2, v0                          // v0 = v0 * 4


/* global read addresses: tile offset assignment b */

/* LVCB = 4 */
/* v2 = (local)groB-tile = serial/LVCB (note (wgB*MTB) will be added to SRD) */
/* v3 = groB-unroll = serial%LVCB */
v_and_b32 v4, 63, v[vgprSerial]                    // v4 = v[vgprSerial] % 64
v_lshrrev_b32 v2, 2, v4                            // v2 = v4 / 4
v_and_b32 v3, 3, v4                                // v3 = v4 % 4
v_readfirstlane_b32 s52, v[vgprSerial]             // WaveIdxWavefrontWidth
s_lshr_b32 s52, s52, 0x6                           // WaveId
s_mul_i32 s52, s52, 16                             // Global Read Wave: each wave loads continuous lsp(16)*nrp(1) columns
_v_add_u32 v2, s52, v2                             // Global Read Wave: add back to column index
/* gro-unroll *= glvw */
v_lshlrev_b32 v3, 0x2, v3                          // v3 = v3 * 4


/******************************************/
/* Local Write Addresses                  */
/******************************************/

/* lwaTileAssignmentA = v0 */

/* lwaTileAssignmentB = v2 */

/* lwaUnrollAssignmentA = v1 */

/* lwaUnrollAssignmentB = v3 */


/* local write addresses: first offset a */

v_mul_u32_u24 v[vgprLocalWriteAddrA], 0xc0, v1     // lwAL**(MTA + PAD)
_v_add_lshl_u32 v[vgprLocalWriteAddrA], v0, v[vgprLocalWriteAddrA], 0x2 // lwFOA = (lwAA + lwAL*(MT0I+PAD))*bpe


/* local write addresses: first offset b */

v_mul_u32_u24 v[vgprLocalWriteAddrB], 0x10, v2     // lwBL**(DepthU_Compute + PAD)
_v_add_lshl_u32 v[vgprLocalWriteAddrB], v3, v[vgprLocalWriteAddrB], 0x2 // lwFOB = (lwBB + lwBL*(DepthU+PAD))*bpe
v_lshrrev_b32 v4, 7, v[vgprLocalWriteAddrB]        // padding 4 per block 128
v_lshlrev_b32 v4, 0x4, v4                          // padding 4 per block 128
_v_add_u32 v[vgprLocalWriteAddrB], v4, v[vgprLocalWriteAddrB] // add padding 4 per block 128
_v_add_co_u32 v[vgprLocalWriteAddrB], vcc, 0x3000, v[vgprLocalWriteAddrB] // lwFOB = lwB1J + lwBL*MT1J + LDS_OFFSET_B=3072*4







s_waitcnt lgkmcnt(0)                               // wait for 112 bytes of kern args
s_mov_b64 s[sgprSrdC+0:sgprSrdC+0+1], s[sgprAddressC+0:sgprAddressC+0+1] // copy addressC
s_mov_b64 s[sgprSrdD+0:sgprSrdD+0+1], s[sgprAddressD+0:sgprAddressD+0+1] // copy addressD
s_sub_u32 s[sgprSrdA+0], s[sgprAddressA+0], 16     // pre-pad to make room for possible pointer shift
s_subb_u32 s[sgprSrdA+1], s[sgprAddressA+1], 0     // pre-pad to make room for possible pointer shift
s_sub_u32 s[sgprSrdB+0], s[sgprAddressB+0], 16     // pre-pad to make room for possible pointer shift
s_subb_u32 s[sgprSrdB+1], s[sgprAddressB+1], 0     // pre-pad to make room for possible pointer shift

.set AddressD, UNDEF
.set AddressC, UNDEF
.set AddressA, UNDEF
.set AddressB, UNDEF

/* Short circuit condition if Alpha == 0, then sumDims=0 */
v_cmp_eq_f32 vcc, s[sgprAlpha], 0.0                // Alpha == 0.0f ?
s_cbranch_vccz label_AlphaNonZero                  // branch if alpha != 0
s_mov_b32 s[sgprSizesSum+0], 0x0                   // Set summation dim=0 if Alpha == 0
label_AlphaNonZero:


	;; [unrolled: 1-line block ×3, first 2 shown]
/******************************************/
/* Begin setupNewTile, isPap=False           */
/******************************************/


/* global read addresses: work-group */

/* graWorkGroup mapping */


/* global read addresses: unroll assignment a */

/* v1 */


/* global read addresses: unroll assignment b */

/* v3 */


/* global read addresses: other free assignments */

/* s[sgprWorkGroup2] */


/* global read addresses: tile offsets a */

v_mov_b32 v4, v0                                   // groA0I_0
_v_add_co_u32 v5, vcc, 64, v4                      // groA0I_1 += LSCA
_v_add_co_u32 v6, vcc, 64, v5                      // groA0I_2 += LSCA


/* global read addresses: tile offsets b */

v_mov_b32 v7, v2                                   // groB1J_0


/* global read addresses: unroll offsets a */

v_mov_b32 v8, v1                                   // groAL_0


/* global read addresses: unroll offsets b */

v_mov_b32 v9, v3                                   // groBL_0


/* global read addresses: shift a */

s_mul_i32 s31, s[sgprWorkGroup0], 192              // WorkGroup[01] * MT
s_sub_u32 s31, s[sgprSizeI], s31                   // edge = Size0I - WG*MT
s_sub_u32 s31, s31, 4                              // edge -= margin(4)
v_mov_b32 v10, s31                                 // edge vgpr = Size0I- WG*MT - margin(4)
v_min_i32 v4, v10, v4                              // offset = (offset < edge) ? offset(v4) : edge(v10)
v_min_i32 v5, v10, v5                              // offset = (offset < edge) ? offset(v5) : edge(v10)
	;; [unrolled: 1-line block ×3, first 2 shown]


/* global read addresses: final offsets a */

GLOBAL_OFFSET_A vgprGlobalReadOffsetA+0,  4,  8, 10 // gROA_0_0_0_0
GLOBAL_OFFSET_A vgprGlobalReadOffsetA+1,  5,  8, 10 // gROA_1_0_0_0
GLOBAL_OFFSET_A vgprGlobalReadOffsetA+2,  6,  8, 10 // gROA_2_0_0_0


/* global read addresses: final offsets b */

GLOBAL_OFFSET_B vgprGlobalReadOffsetB+0,  9,  7, 4 // gROB_0_0_0_0


/* global read addresses: addresses a */

/* max read offset = size[n] * stride[n-1] */
s_mul_hi_u32 s35, s[sgprWorkGroup0], 192           // WorkGroup[01] * MT
s_mul_i32 s34, s[sgprWorkGroup0], 192              // WorkGroup[01] * MT
s_sub_u32 s[sgprShadowLimitA+0], s[sgprTensor2dSizeA], s34 // sub tileStart
s_subb_u32 s[sgprShadowLimitA+1], s[sgprTensor2dSizeA+1], s35 // sub tileStart
s_lshl_b64 s[sgprShadowLimitA:sgprShadowLimitA+1], s[sgprShadowLimitA:sgprShadowLimitA+1], 0x2 // Set limit to use bytes
s_add_u32 s[sgprShadowLimitA+0], s[sgprShadowLimitA+0], 16 // extend limit for pre-pad
s_addc_u32 s[sgprShadowLimitA+1], s[sgprShadowLimitA+1], 0 // extend limit for pre-pad
s_cmp_eq_u32 s[sgprShadowLimitA+1], 0              // are we within 2^32?
s_cselect_b32 s[sgprSrdA+2], s[sgprShadowLimitA+0], BufferLimitA // Move shadow to real if we are within 2^32
s_mul_hi_u32 s33, s[sgprStrideAK], s[sgprWorkGroup2] // Stride*WG
s_mul_i32 s32, s[sgprStrideAK], s[sgprWorkGroup2]  // Stride*WG
s_add_u32 s34, s34, s32                            // accum wg term to tilestart
s_addc_u32 s35, s35, s33                           // accum wg term to tilestart
s_lshl_b64 s[34:35], s[34:35], 0x2                 // tileStart *= BPE
s_add_u32 s[sgprSrdA+0], s[sgprSrdA+0], s34        // SRD base = Address+ tileStart0
s_addc_u32 s[sgprSrdA+1], s[sgprSrdA+1], s35       // SRD base = Address+ tileStart1
s_mov_b32 s[sgprSrdA+3], Srd127_96                 // Set bits 127_96 in SRD


/* global read addresses: addresses b */

/* max read offset = size[n] * stride[n-1] */
s_mul_hi_u32 s35, s[sgprWorkGroup1], 64            // WorkGroup[01] * MT
s_mul_i32 s34, s[sgprWorkGroup1], 64               // WorkGroup[01] * MT
s_mul_hi_u32 s35, s34, s[sgprStrideB1J]            // tlu=0, scaled tile-offset by stride
s_mul_i32 s34, s34, s[sgprStrideB1J]               // tlu=0, scaled tile-offset by stride
s_sub_u32 s[sgprShadowLimitB+0], s[sgprTensor2dSizeB], s34 // sub tileStart
s_subb_u32 s[sgprShadowLimitB+1], s[sgprTensor2dSizeB+1], s35 // sub tileStart
s_lshl_b64 s[sgprShadowLimitB:sgprShadowLimitB+1], s[sgprShadowLimitB:sgprShadowLimitB+1], 0x2 // Set limit to use bytes
s_add_u32 s[sgprShadowLimitB+0], s[sgprShadowLimitB+0], 16 // extend limit for pre-pad
s_addc_u32 s[sgprShadowLimitB+1], s[sgprShadowLimitB+1], 0 // extend limit for pre-pad
s_cmp_eq_u32 s[sgprShadowLimitB+1], 0              // are we within 2^32?
s_cselect_b32 s[sgprSrdB+2], s[sgprShadowLimitB+0], BufferLimitB // Move shadow to real if we are within 2^32
s_mul_hi_u32 s33, s[sgprStrideBK], s[sgprWorkGroup2] // Stride*WG
s_mul_i32 s32, s[sgprStrideBK], s[sgprWorkGroup2]  // Stride*WG
s_add_u32 s34, s34, s32                            // accum wg term to tilestart
s_addc_u32 s35, s35, s33                           // accum wg term to tilestart
s_lshl_b64 s[34:35], s[34:35], 0x2                 // tileStart *= BPE
s_add_u32 s[sgprSrdB+0], s[sgprSrdB+0], s34        // SRD base = Address+ tileStart0
s_addc_u32 s[sgprSrdB+1], s[sgprSrdB+1], s35       // SRD base = Address+ tileStart1
s_mov_b32 s[sgprSrdB+3], Srd127_96                 // Set bits 127_96 in SRD


/* global read addresses: increments a */

s_mul_i32 s[sgprGlobalReadIncsA+0], DepthU*BpeA, s[sgprStrideAL] // incrA unrollIdx)


/* global read addresses: increments b */

s_mov_b32 s[sgprGlobalReadIncsB+0], DepthU*BpeB    // incrB (unrollIdx)

/* declare loop num iterations */


s_lshr_b32 s[sgprLoopCounterL], s[sgprSizesSum+0], 4 // s[sgprLoopCounterL] = s[sgprSizesSum+0] / 16
s_mov_b32 s[sgprOrigLoopCounter], s[sgprLoopCounterL] // copy loop counter

/* local read addresses: init pointers a */


/* localReadInitPointers */

/* local read addresses: init pointers b */


/* localReadInitPointers */


/* prefetch: global -> local */

s_cmp_eq_u32 s[sgprLoopCounterL], 0                // at last iteration?
s_cbranch_scc1 ShadowInitStart_10                  // skip to ShadowInitStart iter b/c numIter==0


_buffer_load_b128 v[vgprG2LA+0:vgprG2LA+0+3], v[vgprGlobalReadOffsetA+0], s[sgprSrdA:sgprSrdA+3], 0, offen offset:0 // G -> Reg 0_0_0_0
_buffer_load_b128 v[vgprG2LA+4:vgprG2LA+4+3], v[vgprGlobalReadOffsetA+1], s[sgprSrdA:sgprSrdA+3], 0, offen offset:0 // G -> Reg 1_0_0_0
_buffer_load_b128 v[vgprG2LA+8:vgprG2LA+8+3], v[vgprGlobalReadOffsetA+2], s[sgprSrdA:sgprSrdA+3], 0, offen offset:0 // G -> Reg 2_0_0_0


_buffer_load_b128 v[vgprG2LB+0:vgprG2LB+0+3], v[vgprGlobalReadOffsetB+0], s[sgprSrdB:sgprSrdB+3], 0, offen offset:0 // G -> Reg 0_0_0_0


/* global read inc A loopL */
s_add_u32 s[sgprSrdA+0], s[sgprSrdA+0], s[sgprGlobalReadIncsA+0] // gra SRD += inc(lower)
s_addc_u32  s[sgprSrdA+1], s[sgprSrdA+1], 0        // gra SRD += inc(upper)
s_sub_u32 s[sgprShadowLimitA+0], s[sgprShadowLimitA+0], s[sgprGlobalReadIncsA+0] // limit -= inc)
s_subb_u32 s[sgprShadowLimitA+1], s[sgprShadowLimitA+1], 0 // limit -= inc)
s_cmp_eq_u32 s[sgprShadowLimitA+1], 0              // are we within 2^32?
s_cmov_b32 s[sgprSrdA+2], s[sgprShadowLimitA+0]    // Move shadow to real if we are within 2^32

/* global read inc B loopL */
s_add_u32 s[sgprSrdB+0], s[sgprSrdB+0], s[sgprGlobalReadIncsB+0] // gra SRD += inc(lower)
s_addc_u32  s[sgprSrdB+1], s[sgprSrdB+1], 0        // gra SRD += inc(upper)
s_sub_u32 s[sgprShadowLimitB+0], s[sgprShadowLimitB+0], s[sgprGlobalReadIncsB+0] // limit -= inc)
s_subb_u32 s[sgprShadowLimitB+1], s[sgprShadowLimitB+1], 0 // limit -= inc)
s_cmp_eq_u32 s[sgprShadowLimitB+1], 0              // are we within 2^32?
s_cmov_b32 s[sgprSrdB+2], s[sgprShadowLimitB+0]    // Move shadow to real if we are within 2^32


/******************************************/
/* End setupNewTile, isPap=False             */
/******************************************/

ShadowInitStart_10: // 

s_mov_b32 s[sgprSrdD+2], BufferOOB                 // 
s_mov_b32 s[sgprSrdD+3], Srd127_96                 // Set bits 127_96 in post-loop SRD

s_mov_b32 s[sgprSrdC+2], BufferOOB                 // 
s_mov_b32 s[sgprSrdC+3], Srd127_96                 // Set bits 127_96 in post-loop SRD


s_mul_i32 s34, MT1, s[sgprWorkGroup1]              // <- wg1*MT1
s_mul_hi_u32 s33, s34, s[sgprStrideC1J]            // CScale s34 by Stride
s_mul_i32 s32, s34, s[sgprStrideC1J]               // CScale s34 by Stride
s_lshl_b64 s[32:33], s[32:33], 2                   // scale by bpe
s_add_u32 s[sgprSrdC+0], s[sgprSrdC+0], s32        // add lo to SRD
s_addc_u32 s[sgprSrdC+1], s[sgprSrdC+1], s33       // add hi to SRD
s_mul_hi_u32 s33, s34, s[sgprStrideD1J]            // Scale s34 by Stride
s_mul_i32 s32, s34, s[sgprStrideD1J]               // Scale s34 by Stride
s_lshl_b64 s[32:33], s[32:33], 2                   // scale by bpe
s_add_u32 s[sgprSrdD+0], s[sgprSrdD+0], s32        // add lo to SRD
s_addc_u32 s[sgprSrdD+1], s[sgprSrdD+1], s33       // add hi to SRD

s_mul_hi_u32 s33, s[sgprWorkGroup2], s[sgprStrideCK] // CScale s[sgprWorkGroup2] by Stride
s_mul_i32 s32, s[sgprWorkGroup2], s[sgprStrideCK]  // CScale s[sgprWorkGroup2] by Stride
s_lshl_b64 s[32:33], s[32:33], 2                   // scale by bpe
s_add_u32 s[sgprSrdC+0], s[sgprSrdC+0], s32        // add lo to SRD
s_addc_u32 s[sgprSrdC+1], s[sgprSrdC+1], s33       // add hi to SRD
s_mul_hi_u32 s33, s[sgprWorkGroup2], s[sgprStrideDK] // Scale s[sgprWorkGroup2] by Stride
s_mul_i32 s32, s[sgprWorkGroup2], s[sgprStrideDK]  // Scale s[sgprWorkGroup2] by Stride
s_lshl_b64 s[32:33], s[32:33], 2                   // scale by bpe
s_add_u32 s[sgprSrdD+0], s[sgprSrdD+0], s32        // add lo to SRD
s_addc_u32 s[sgprSrdD+1], s[sgprSrdD+1], s33       // add hi to SRD



/* initC: remove C-tile 0-0 from pool */

/* initC: remove AB-tile 0-32 from pool */
v_accvgpr_write acc0, 0x0                          // initC
v_accvgpr_write acc1, 0x0                          // initC
v_accvgpr_write acc2, 0x0                          // initC
v_accvgpr_write acc3, 0x0                          // initC
v_accvgpr_write acc4, 0x0                          // initC
v_accvgpr_write acc5, 0x0                          // initC
v_accvgpr_write acc6, 0x0                          // initC
v_accvgpr_write acc7, 0x0                          // initC
v_accvgpr_write acc8, 0x0                          // initC
v_accvgpr_write acc9, 0x0                          // initC
v_accvgpr_write acc10, 0x0                         // initC
v_accvgpr_write acc11, 0x0                         // initC
v_accvgpr_write acc12, 0x0                         // initC
v_accvgpr_write acc13, 0x0                         // initC
v_accvgpr_write acc14, 0x0                         // initC
v_accvgpr_write acc15, 0x0                         // initC
v_accvgpr_write acc16, 0x0                         // initC
v_accvgpr_write acc17, 0x0                         // initC
v_accvgpr_write acc18, 0x0                         // initC
v_accvgpr_write acc19, 0x0                         // initC
v_accvgpr_write acc20, 0x0                         // initC
v_accvgpr_write acc21, 0x0                         // initC
v_accvgpr_write acc22, 0x0                         // initC
v_accvgpr_write acc23, 0x0                         // initC
v_accvgpr_write acc24, 0x0                         // initC
v_accvgpr_write acc25, 0x0                         // initC
v_accvgpr_write acc26, 0x0                         // initC
v_accvgpr_write acc27, 0x0                         // initC
v_accvgpr_write acc28, 0x0                         // initC
v_accvgpr_write acc29, 0x0                         // initC
v_accvgpr_write acc30, 0x0                         // initC
v_accvgpr_write acc31, 0x0                         // initC
v_accvgpr_write acc32, 0x0                         // initC
v_accvgpr_write acc33, 0x0                         // initC
v_accvgpr_write acc34, 0x0                         // initC
v_accvgpr_write acc35, 0x0                         // initC
v_accvgpr_write acc36, 0x0                         // initC
v_accvgpr_write acc37, 0x0                         // initC
v_accvgpr_write acc38, 0x0                         // initC
v_accvgpr_write acc39, 0x0                         // initC
v_accvgpr_write acc40, 0x0                         // initC
v_accvgpr_write acc41, 0x0                         // initC
v_accvgpr_write acc42, 0x0                         // initC
v_accvgpr_write acc43, 0x0                         // initC
v_accvgpr_write acc44, 0x0                         // initC
v_accvgpr_write acc45, 0x0                         // initC
v_accvgpr_write acc46, 0x0                         // initC
v_accvgpr_write acc47, 0x0                         // initC

s_cmp_eq_u32 s[sgprLoopCounterL], 0                // at last iteration?

/* after InitC, skip to end of prefetch last iter if numIter==0 */
s_cbranch_scc0 label_NoBranch_11                   // Only branch on scc1
s_getpc_B64 s[32:33]                               // addr of next instr
s_add_i32 s34, PrefetchGlobalLastIterEnd_5, 0x4    // target branch offset
s_add_u32 s32, s32, s34                            // add target branch offset
s_addc_u32 s33, s33, 0                             // add high and carry
s_setpc_b64 s[32:33]                               // branch to PrefetchGlobalLastIterEnd_5
label_NoBranch_11:

s_waitcnt vmcnt(0)                                 // lgkmcnt=-1 vmcnt=0 8wait for global read


/* local write a */
_ds_store_b128 v[vgprLocalWriteAddrA], v[vgprG2LA+0:vgprG2LA+0+3] offset:0 // lwoA_0_0_0_0 = (0*LSCA) + (0*LSPA)(*MT0I+PAD) = 0
_ds_store_b128 v[vgprLocalWriteAddrA], v[vgprG2LA+4:vgprG2LA+4+3] offset:256 // lwoA_1_0_0_0 = (1*LSCA) + (0*LSPA)(*MT0I+PAD) = 256
_ds_store_b128 v[vgprLocalWriteAddrA], v[vgprG2LA+8:vgprG2LA+8+3] offset:512 // lwoA_2_0_0_0 = (2*LSCA) + (0*LSPA)(*MT0I+PAD) = 512

/* local write b */
_ds_store_b128 v[vgprLocalWriteAddrB], v[vgprG2LB+0:vgprG2LB+0+3] offset:0 // lwoB_0_0_0_0 = (0*LSCB)*(MT1J+PAD) + (0*LSPB) = 0


/* local write swap a */

v_xor_b32 v[vgprLocalWriteAddrA+0], 0x8000, v[vgprLocalWriteAddrA+0] // swap Red Blk


/* local write swap b */

v_xor_b32 v[vgprLocalWriteAddrB+0], 0x8000, v[vgprLocalWriteAddrB+0] // swap Red Blk


	;; [unrolled: 1-line block ×3, first 2 shown]
s_cmp_eq_u32 s[sgprLoopCounterL] 0x1               // PGR=2 but only 1 loop
s_cbranch_scc1 label_0012                          // PGR=2 but only 1 loop


_buffer_load_b128 v[vgprG2LA+0:vgprG2LA+0+3], v[vgprGlobalReadOffsetA+0], s[sgprSrdA:sgprSrdA+3], 0, offen offset:0 // G -> Reg 0_0_0_0
_buffer_load_b128 v[vgprG2LA+4:vgprG2LA+4+3], v[vgprGlobalReadOffsetA+1], s[sgprSrdA:sgprSrdA+3], 0, offen offset:0 // G -> Reg 1_0_0_0
_buffer_load_b128 v[vgprG2LA+8:vgprG2LA+8+3], v[vgprGlobalReadOffsetA+2], s[sgprSrdA:sgprSrdA+3], 0, offen offset:0 // G -> Reg 2_0_0_0


_buffer_load_b128 v[vgprG2LB+0:vgprG2LB+0+3], v[vgprGlobalReadOffsetB+0], s[sgprSrdB:sgprSrdB+3], 0, offen offset:0 // G -> Reg 0_0_0_0

label_0012:                                        // 

s_waitcnt lgkmcnt(0)                               // lgkmcnt=0 vmcnt=-10prefetch wait for local write

// Skip force waitcnt0
s_barrier //


/* local read prefetch a */

_ds_load_b32 v[vgprValuA_X0_I0+0], v[vgprLocalReadAddrA] offset:0 // L -> Reg lro=0 swapByteOffset=0 ti=64 vIdx=0 rIdx=0 oIdx=0 buffer=0 iui=0
_ds_load_b32 v[vgprValuA_X0_I0+1], v[vgprLocalReadAddrA] offset:256 // L -> Reg lro=0 swapByteOffset=0 ti=64 vIdx=1 rIdx=0 oIdx=0 buffer=0 iui=0
	;; [unrolled: 1-line block ×3, first 2 shown]


/* local read prefetch b */

_ds_load_b64 v[vgprValuB_X0_I0+0:vgprValuB_X0_I0+0+1], v[vgprLocalReadAddrB] offset:0 // L -> Reg lro=0 swapByteOffset=0 ti=64 vIdx=0 rIdx=0 oIdx=0 buffer=0 iui=0


/* local read inc a */

/* N/A, lro->192 */
/* self.localReadDoCntA 1 self.localReadDoCntB 1 */


/* local read inc b */

/* N/A, lro->4 */
/* self.localReadDoCntA 1 self.localReadDoCntB 1 */


	;; [unrolled: 1-line block ×3, first 2 shown]
/******************************************/
/* Unrolled Loop(s) - Begin               */
/******************************************/

openLoopL_13:
s_cmp_eq_u32 s[sgprLoopCounterL], 0x1              // LoopCounterL < EndCounter
s_cbranch_scc1 label_0014                          // PGR=2 but only 1 loop, toPGR1
s_cmp_le_u32 s[sgprLoopCounterL], 0x2              // LoopCounterL < EndCounter
s_cbranch_scc1 LoopEndL_2                          // do not enter LoopL
LoopBeginL_1:


/******************************************/
/* Unrolled Loop 1/1 - Begin              */
/******************************************/

label_0015: // LoopCopy1 


/* Begin Each Unroll: Check VGPR.checkin for INT8 LW */


	;; [unrolled: 1-line block ×3, first 2 shown]
/* iter 0 */

/*  grEndMfmaIndex:2, lwStartMfmaIndex:4, lwEndMfmaIndex:21  */
/*  numMfmaForLR:1, barrierMfmaIndex:22, LocalWritePerMfma:0.180 */
/*  mfmaIndex:0  */
s_waitcnt lgkmcnt(0)                               // lgkmcnt=0 vmcnt=-1wait for prior local read local write old=0, new=0 newLW=0 newLR=0
v_mfma_f32_32x32x2f32 a[0+0:15+0], v[vgprValuA_X0_I0+0+0+0], v[vgprValuB_X0_I0+0+0+0], a[0:15]
/*  mfmaIndex:1  */
_ds_load_b32 v[vgprValuA_X1_I0+0], v[vgprLocalReadAddrA] offset:768 // L -> Reg lro=192 swapByteOffset=0 ti=64 vIdx=0 rIdx=0 oIdx=0 buffer=1 iui=0
_ds_load_b64 v[vgprValuB_X2_I0+0:vgprValuB_X2_I0+0+1], v[vgprLocalReadAddrB] offset:16 // L -> Reg lro=4 swapByteOffset=0 ti=64 vIdx=0 rIdx=0 oIdx=0 buffer=2 iui=0
_ds_load_b32 v[vgprValuA_X1_I0+1], v[vgprLocalReadAddrA] offset:1024 // L -> Reg lro=192 swapByteOffset=0 ti=64 vIdx=1 rIdx=0 oIdx=0 buffer=1 iui=0
_ds_load_b32 v[vgprValuA_X1_I0+2], v[vgprLocalReadAddrA] offset:1280 // L -> Reg lro=192 swapByteOffset=0 ti=64 vIdx=2 rIdx=0 oIdx=0 buffer=1 iui=0
/* localReadsVacancy: latencyLeft 5 */
_ds_load_b32 v[vgprValuA_X2_I0+0], v[vgprLocalReadAddrA] offset:3072 // L -> Reg lro=768 swapByteOffset=0 ti=64 vIdx=0 rIdx=0 oIdx=0 buffer=2 iui=0
_ds_load_b64 v[vgprValuB_X4_I0+0:vgprValuB_X4_I0+0+1], v[vgprLocalReadAddrB] offset:32 // L -> Reg lro=8 swapByteOffset=0 ti=64 vIdx=0 rIdx=0 oIdx=0 buffer=4 iui=0

/* global read inc A loopL */
s_add_u32 s[sgprSrdA+0], s[sgprSrdA+0], s[sgprGlobalReadIncsA+0] // gra SRD += inc(lower)
s_addc_u32  s[sgprSrdA+1], s[sgprSrdA+1], 0        // gra SRD += inc(upper)
s_sub_u32 s[sgprShadowLimitA+0], s[sgprShadowLimitA+0], s[sgprGlobalReadIncsA+0] // limit -= inc)
s_subb_u32 s[sgprShadowLimitA+1], s[sgprShadowLimitA+1], 0 // limit -= inc)
s_cmp_eq_u32 s[sgprShadowLimitA+1], 0              // are we within 2^32?
s_cmov_b32 s[sgprSrdA+2], s[sgprShadowLimitA+0]    // Move shadow to real if we are within 2^32

/* global read inc B loopL */
s_add_u32 s[sgprSrdB+0], s[sgprSrdB+0], s[sgprGlobalReadIncsB+0] // gra SRD += inc(lower)
v_mfma_f32_32x32x2f32 a[16+0:31+0], v[vgprValuA_X0_I0+1+0+0], v[vgprValuB_X0_I0+0+0+0], a[16:31]
/*  mfmaIndex:2  */
/* localReadsVacancy: latencyLeft 13 */
_ds_load_b32 v[vgprValuA_X2_I0+1], v[vgprLocalReadAddrA] offset:3328 // L -> Reg lro=768 swapByteOffset=0 ti=64 vIdx=1 rIdx=0 oIdx=0 buffer=2 iui=0
_ds_load_b32 v[vgprValuA_X2_I0+2], v[vgprLocalReadAddrA] offset:3584 // L -> Reg lro=768 swapByteOffset=0 ti=64 vIdx=2 rIdx=0 oIdx=0 buffer=2 iui=0
_ds_load_b32 v[vgprValuA_X3_I0+0], v[vgprLocalReadAddrA] offset:3840 // L -> Reg lro=960 swapByteOffset=0 ti=64 vIdx=0 rIdx=0 oIdx=0 buffer=3 iui=0
_ds_load_b64 v[vgprValuB_X6_I0+0:vgprValuB_X6_I0+0+1], v[vgprLocalReadAddrB] offset:48 // L -> Reg lro=12 swapByteOffset=0 ti=64 vIdx=0 rIdx=0 oIdx=0 buffer=6 iui=0
_ds_load_b32 v[vgprValuA_X3_I0+1], v[vgprLocalReadAddrA] offset:4096 // L -> Reg lro=960 swapByteOffset=0 ti=64 vIdx=1 rIdx=0 oIdx=0 buffer=3 iui=0
_ds_load_b32 v[vgprValuA_X3_I0+2], v[vgprLocalReadAddrA] offset:4352 // L -> Reg lro=960 swapByteOffset=0 ti=64 vIdx=2 rIdx=0 oIdx=0 buffer=3 iui=0
s_addc_u32  s[sgprSrdB+1], s[sgprSrdB+1], 0        // gra SRD += inc(upper)
s_sub_u32 s[sgprShadowLimitB+0], s[sgprShadowLimitB+0], s[sgprGlobalReadIncsB+0] // limit -= inc)
s_subb_u32 s[sgprShadowLimitB+1], s[sgprShadowLimitB+1], 0 // limit -= inc)
s_cmp_eq_u32 s[sgprShadowLimitB+1], 0              // are we within 2^32?
s_cmov_b32 s[sgprSrdB+2], s[sgprShadowLimitB+0]    // Move shadow to real if we are within 2^32
v_mfma_f32_32x32x2f32 a[32+0:47+0], v[vgprValuA_X0_I0+2+0+0], v[vgprValuB_X0_I0+0+0+0], a[32:47]
/* numPrefetchIter=0 */
/* dataAtIterA=-1 numReadsIterA=1 skipReadsIterA=1 readsPerIterA=3 */
/* dataAtIterB=-1 numReadsIterB=1 skipReadsIterB=1 readsPerIterB=1 */


/* iter 1 */

/*  grEndMfmaIndex:2, lwStartMfmaIndex:4, lwEndMfmaIndex:21  */
/*  numMfmaForLR:1, barrierMfmaIndex:22, LocalWritePerMfma:0.180 */
/*  mfmaIndex:3  */
/* localReadsVacancy: latencyLeft 13 */
_ds_load_b32 v[vgprValuA_X4_I0+0], v[vgprLocalReadAddrA] offset:6144 // L -> Reg lro=1536 swapByteOffset=0 ti=64 vIdx=0 rIdx=0 oIdx=0 buffer=4 iui=0
_ds_load_b32 v[vgprValuA_X4_I0+1], v[vgprLocalReadAddrA] offset:6400 // L -> Reg lro=1536 swapByteOffset=0 ti=64 vIdx=1 rIdx=0 oIdx=0 buffer=4 iui=0
	;; [unrolled: 1-line block ×3, first 2 shown]
_ds_load_b32 v[vgprValuA_X5_I0+0], v[vgprLocalReadAddrA] offset:6912 // L -> Reg lro=1728 swapByteOffset=0 ti=64 vIdx=0 rIdx=0 oIdx=0 buffer=5 iui=0
_ds_load_b32 v[vgprValuA_X5_I0+1], v[vgprLocalReadAddrA] offset:7168 // L -> Reg lro=1728 swapByteOffset=0 ti=64 vIdx=1 rIdx=0 oIdx=0 buffer=5 iui=0
	;; [unrolled: 1-line block ×3, first 2 shown]
s_waitcnt lgkmcnt(14)                              // lgkmcnt=0 vmcnt=-1wait for prior local read local write old=4, new=4 newLW=0 newLR=0
v_mfma_f32_32x32x2f32 a[0+0:15+0], v[vgprValuA_X1_I0+0+0+0], v[vgprValuB_X0_I0+0+1+0], a[0:15]
/*  mfmaIndex:4  */
/* localReadsVacancy: latencyLeft 3 */
_ds_load_b32 v[vgprValuA_X6_I0+0], v[vgprLocalReadAddrA] offset:9216 // L -> Reg lro=2304 swapByteOffset=0 ti=64 vIdx=0 rIdx=0 oIdx=0 buffer=6 iui=0
/* sched write - iter 1 writesPerItem=1 */
s_waitcnt vmcnt(0)                                 // lgkmcnt=-1 vmcnt=0wait for global read before writing to local
_ds_store_b128 v[vgprLocalWriteAddrA], v[vgprG2LA+0:vgprG2LA+0+3] offset:0 // lwoA_0_0_0_0 = (0*LSCA) + (0*LSPA)(*MT0I+PAD) = 0
v_mfma_f32_32x32x2f32 a[16+0:31+0], v[vgprValuA_X1_I0+1+0+0], v[vgprValuB_X0_I0+0+1+0], a[16:31]
/*  mfmaIndex:5  */
/* localReadsVacancy: latencyLeft 13 */
_ds_load_b32 v[vgprValuA_X6_I0+1], v[vgprLocalReadAddrA] offset:9472 // L -> Reg lro=2304 swapByteOffset=0 ti=64 vIdx=1 rIdx=0 oIdx=0 buffer=6 iui=0
_ds_load_b32 v[vgprValuA_X6_I0+2], v[vgprLocalReadAddrA] offset:9728 // L -> Reg lro=2304 swapByteOffset=0 ti=64 vIdx=2 rIdx=0 oIdx=0 buffer=6 iui=0
_ds_load_b32 v[vgprValuA_X7_I0+0], v[vgprLocalReadAddrA] offset:9984 // L -> Reg lro=2496 swapByteOffset=0 ti=64 vIdx=0 rIdx=0 oIdx=0 buffer=7 iui=0
_ds_load_b32 v[vgprValuA_X7_I0+1], v[vgprLocalReadAddrA] offset:10240 // L -> Reg lro=2496 swapByteOffset=0 ti=64 vIdx=1 rIdx=0 oIdx=0 buffer=7 iui=0
	;; [unrolled: 1-line block ×3, first 2 shown]
_buffer_load_b128 v[vgprG2LA+0:vgprG2LA+0+3], v[vgprGlobalReadOffsetA+0], s[sgprSrdA:sgprSrdA+3], 0, offen offset:0 // G -> Reg 0_0_0_0
v_mfma_f32_32x32x2f32 a[32+0:47+0], v[vgprValuA_X1_I0+2+0+0], v[vgprValuB_X0_I0+0+1+0], a[32:47]
/* numPrefetchIter=0 */
/* dataAtIterA=0 numReadsIterA=2 skipReadsIterA=1 readsPerIterA=3 */
/* dataAtIterB=-1 numReadsIterB=2 skipReadsIterB=0 readsPerIterB=1 */


/* iter 2 */

/*  grEndMfmaIndex:2, lwStartMfmaIndex:4, lwEndMfmaIndex:21  */
/*  numMfmaForLR:1, barrierMfmaIndex:22, LocalWritePerMfma:0.180 */
/*  mfmaIndex:6  */
/* localReadsVacancy: latencyLeft 13 */
s_waitcnt lgkmcnt(13)                              // lgkmcnt=0 vmcnt=-1wait for prior local read local write old=0, new=1 newLW=1 newLR=0
v_mfma_f32_32x32x2f32 a[0+0:15+0], v[vgprValuA_X2_I0+0+0+0], v[vgprValuB_X2_I0+0+0+0], a[0:15]
/*  mfmaIndex:7  */
/* localReadsVacancy: latencyLeft 13 */
v_mfma_f32_32x32x2f32 a[16+0:31+0], v[vgprValuA_X2_I0+1+0+0], v[vgprValuB_X2_I0+0+0+0], a[16:31]
/*  mfmaIndex:8  */
/* localReadsVacancy: latencyLeft 13 */
v_mfma_f32_32x32x2f32 a[32+0:47+0], v[vgprValuA_X2_I0+2+0+0], v[vgprValuB_X2_I0+0+0+0], a[32:47]
/* numPrefetchIter=0 */
/* dataAtIterA=1 numReadsIterA=3 skipReadsIterA=1 readsPerIterA=3 */
/* dataAtIterB=0 numReadsIterB=3 skipReadsIterB=0 readsPerIterB=1 */


/* iter 3 */

/*  grEndMfmaIndex:2, lwStartMfmaIndex:4, lwEndMfmaIndex:21  */
/*  numMfmaForLR:1, barrierMfmaIndex:22, LocalWritePerMfma:0.180 */
/*  mfmaIndex:9  */
/* localReadsVacancy: latencyLeft 3 */
/* sched write - iter 3 writesPerItem=1 */
s_waitcnt vmcnt(0)                                 // lgkmcnt=-1 vmcnt=0wait for global read before writing to local
_ds_store_b128 v[vgprLocalWriteAddrA], v[vgprG2LA+4:vgprG2LA+4+3] offset:256 // lwoA_1_0_0_0 = (1*LSCA) + (0*LSPA)(*MT0I+PAD) = 256
s_waitcnt lgkmcnt(13)                              // lgkmcnt=0 vmcnt=-1wait for prior local read local write old=3, new=4 newLW=1 newLR=0
v_mfma_f32_32x32x2f32 a[0+0:15+0], v[vgprValuA_X3_I0+0+0+0], v[vgprValuB_X2_I0+0+1+0], a[0:15]
/*  mfmaIndex:10  */
/* localReadsVacancy: latencyLeft 13 */
_buffer_load_b128 v[vgprG2LA+4:vgprG2LA+4+3], v[vgprGlobalReadOffsetA+1], s[sgprSrdA:sgprSrdA+3], 0, offen offset:0 // G -> Reg 1_0_0_0
v_mfma_f32_32x32x2f32 a[16+0:31+0], v[vgprValuA_X3_I0+1+0+0], v[vgprValuB_X2_I0+0+1+0], a[16:31]
/*  mfmaIndex:11  */
/* localReadsVacancy: latencyLeft 13 */
v_mfma_f32_32x32x2f32 a[32+0:47+0], v[vgprValuA_X3_I0+2+0+0], v[vgprValuB_X2_I0+0+1+0], a[32:47]
/* numPrefetchIter=0 */
/* dataAtIterA=2 numReadsIterA=4 skipReadsIterA=1 readsPerIterA=3 */
/* dataAtIterB=0 numReadsIterB=3 skipReadsIterB=0 readsPerIterB=1 */


/* iter 4 */

/*  grEndMfmaIndex:2, lwStartMfmaIndex:4, lwEndMfmaIndex:21  */
/*  numMfmaForLR:1, barrierMfmaIndex:22, LocalWritePerMfma:0.180 */
/*  mfmaIndex:12  */
/* localReadsVacancy: latencyLeft 13 */
s_waitcnt lgkmcnt(10)                              // lgkmcnt=0 vmcnt=-1wait for prior local read local write old=3, new=4 newLW=1 newLR=0
v_mfma_f32_32x32x2f32 a[0+0:15+0], v[vgprValuA_X4_I0+0+0+0], v[vgprValuB_X4_I0+0+0+0], a[0:15]
/*  mfmaIndex:13  */
/* localReadsVacancy: latencyLeft 13 */
v_mfma_f32_32x32x2f32 a[16+0:31+0], v[vgprValuA_X4_I0+1+0+0], v[vgprValuB_X4_I0+0+0+0], a[16:31]
/*  mfmaIndex:14  */
/* localReadsVacancy: latencyLeft 13 */
v_mfma_f32_32x32x2f32 a[32+0:47+0], v[vgprValuA_X4_I0+2+0+0], v[vgprValuB_X4_I0+0+0+0], a[32:47]
/* numPrefetchIter=0 */
/* dataAtIterA=3 numReadsIterA=5 skipReadsIterA=1 readsPerIterA=3 */
/* dataAtIterB=1 numReadsIterB=3 skipReadsIterB=0 readsPerIterB=1 */


/* iter 5 */

/*  grEndMfmaIndex:2, lwStartMfmaIndex:4, lwEndMfmaIndex:21  */
/*  numMfmaForLR:1, barrierMfmaIndex:22, LocalWritePerMfma:0.180 */
/*  mfmaIndex:15  */
/* localReadsVacancy: latencyLeft 3 */
/* sched write - iter 5 writesPerItem=1 */
s_waitcnt vmcnt(0)                                 // lgkmcnt=-1 vmcnt=0wait for global read before writing to local
_ds_store_b128 v[vgprLocalWriteAddrA], v[vgprG2LA+8:vgprG2LA+8+3] offset:512 // lwoA_2_0_0_0 = (2*LSCA) + (0*LSPA)(*MT0I+PAD) = 512
s_waitcnt lgkmcnt(7)                               // lgkmcnt=0 vmcnt=-1wait for prior local read local write old=3, new=4 newLW=1 newLR=0
v_mfma_f32_32x32x2f32 a[0+0:15+0], v[vgprValuA_X5_I0+0+0+0], v[vgprValuB_X4_I0+0+1+0], a[0:15]
/*  mfmaIndex:16  */
/* localReadsVacancy: latencyLeft 13 */
_buffer_load_b128 v[vgprG2LA+8:vgprG2LA+8+3], v[vgprGlobalReadOffsetA+2], s[sgprSrdA:sgprSrdA+3], 0, offen offset:0 // G -> Reg 2_0_0_0
v_mfma_f32_32x32x2f32 a[16+0:31+0], v[vgprValuA_X5_I0+1+0+0], v[vgprValuB_X4_I0+0+1+0], a[16:31]
/*  mfmaIndex:17  */
/* localReadsVacancy: latencyLeft 13 */
v_mfma_f32_32x32x2f32 a[32+0:47+0], v[vgprValuA_X5_I0+2+0+0], v[vgprValuB_X4_I0+0+1+0], a[32:47]
/* numPrefetchIter=0 */
/* dataAtIterA=4 numReadsIterA=6 skipReadsIterA=1 readsPerIterA=3 */
/* dataAtIterB=1 numReadsIterB=3 skipReadsIterB=0 readsPerIterB=1 */


/* iter 6 (reset local read pointers iteration)  (swap local read pointers iteration)  */

/*  grEndMfmaIndex:2, lwStartMfmaIndex:4, lwEndMfmaIndex:21  */
/*  numMfmaForLR:1, barrierMfmaIndex:22, LocalWritePerMfma:0.180 */
/*  mfmaIndex:18  */
/* localReadsVacancy: latencyLeft 13 */
s_waitcnt lgkmcnt(4)                               // lgkmcnt=0 vmcnt=-1wait for prior local read local write old=3, new=4 newLW=1 newLR=0
v_mfma_f32_32x32x2f32 a[0+0:15+0], v[vgprValuA_X6_I0+0+0+0], v[vgprValuB_X6_I0+0+0+0], a[0:15]
/*  mfmaIndex:19  */
/* localReadsVacancy: latencyLeft 13 */
v_mfma_f32_32x32x2f32 a[16+0:31+0], v[vgprValuA_X6_I0+1+0+0], v[vgprValuB_X6_I0+0+0+0], a[16:31]
/*  mfmaIndex:20  */
/* localReadsVacancy: latencyLeft 3 */
/* sched write - iter 6 writesPerItem=1 */
s_waitcnt vmcnt(0)                                 // lgkmcnt=-1 vmcnt=0wait for global read before writing to local
_ds_store_b128 v[vgprLocalWriteAddrB], v[vgprG2LB+0:vgprG2LB+0+3] offset:0 // lwoB_0_0_0_0 = (0*LSCB)*(MT1J+PAD) + (0*LSPB) = 0

/* local read swap offsets a */
v_xor_b32 v[vgprLocalReadAddrA], 0x8000, v[vgprLocalReadAddrA] // swap Red Blk

/* local read swap offsets b */
v_xor_b32 v[vgprLocalReadAddrB], 0x8000, v[vgprLocalReadAddrB] // swap Red Blk

/* local read init pointers a */

/* localReadInitPointers */

/* local read init pointers b */

/* localReadInitPointers */
v_mfma_f32_32x32x2f32 a[32+0:47+0], v[vgprValuA_X6_I0+2+0+0], v[vgprValuB_X6_I0+0+0+0], a[32:47]
/* numPrefetchIter=0 */
/* dataAtIterA=5 numReadsIterA=7 skipReadsIterA=1 readsPerIterA=3 */
/* dataAtIterB=2 numReadsIterB=3 skipReadsIterB=0 readsPerIterB=1 */


/* iter 7 (swap and reset local write pointers iteration)  */

/*  grEndMfmaIndex:2, lwStartMfmaIndex:4, lwEndMfmaIndex:21  */
/*  numMfmaForLR:1, barrierMfmaIndex:22, LocalWritePerMfma:0.180 */
/*  mfmaIndex:21  */
_buffer_load_b128 v[vgprG2LB+0:vgprG2LB+0+3], v[vgprGlobalReadOffsetB+0], s[sgprSrdB:sgprSrdB+3], 0, offen offset:0 // G -> Reg 0_0_0_0

/* local write swap offsets a */
v_xor_b32 v[vgprLocalWriteAddrA+0], 0x8000, v[vgprLocalWriteAddrA+0] // swap Red Blk

/* local write swap offsets b */
v_xor_b32 v[vgprLocalWriteAddrB+0], 0x8000, v[vgprLocalWriteAddrB+0] // swap Red Blk
s_waitcnt lgkmcnt(1)                               // lgkmcnt=0 vmcnt=-1wait for prior local read local write old=0, new=1 newLW=1 newLR=0
v_mfma_f32_32x32x2f32 a[0+0:15+0], v[vgprValuA_X7_I0+0+0+0], v[vgprValuB_X6_I0+0+1+0], a[0:15]
/*  mfmaIndex:22  */
s_waitcnt lgkmcnt(0)                               // lgkmcnt=0 vmcnt=-13wait for local write
// Skip force waitcnt0
s_barrier //
v_mfma_f32_32x32x2f32 a[16+0:31+0], v[vgprValuA_X7_I0+1+0+0], v[vgprValuB_X6_I0+0+1+0], a[16:31]
/*  mfmaIndex:23  */
_ds_load_b32 v[vgprValuA_X0_I0+0], v[vgprLocalReadAddrA] offset:0 // L -> Reg lro=0 swapByteOffset=0 ti=64 vIdx=0 rIdx=0 oIdx=0 buffer=0 iui=0
_ds_load_b64 v[vgprValuB_X0_I0+0:vgprValuB_X0_I0+0+1], v[vgprLocalReadAddrB] offset:0 // L -> Reg lro=0 swapByteOffset=0 ti=64 vIdx=0 rIdx=0 oIdx=0 buffer=0 iui=0
_ds_load_b32 v[vgprValuA_X0_I0+1], v[vgprLocalReadAddrA] offset:256 // L -> Reg lro=0 swapByteOffset=0 ti=64 vIdx=1 rIdx=0 oIdx=0 buffer=0 iui=0
_ds_load_b32 v[vgprValuA_X0_I0+2], v[vgprLocalReadAddrA] offset:512 // L -> Reg lro=0 swapByteOffset=0 ti=64 vIdx=2 rIdx=0 oIdx=0 buffer=0 iui=0
v_mfma_f32_32x32x2f32 a[32+0:47+0], v[vgprValuA_X7_I0+2+0+0], v[vgprValuB_X6_I0+0+1+0], a[32:47]
/* numPrefetchIter=1 */
/* dataAtIterA=6 numReadsIterA=7 skipReadsIterA=1 readsPerIterA=3 */
/* dataAtIterB=2 numReadsIterB=3 skipReadsIterB=1 readsPerIterB=1 */


/******************************************/
/* Unrolled Loop - End                    */
/******************************************/


/* closeLoop loopL finalLoop=1 tailLoop=0 */
s_sub_u32 s[sgprLoopCounterL], s[sgprLoopCounterL], 1 // dec counterL
s_cmp_eq_i32 s[sgprLoopCounterL], 0x2              // counterL==2
s_cbranch_scc0 LoopBeginL_1                        // restart LoopL
LoopEndL_2:


/* Before NLL: Check VGPR.checkin for INT8 LW */


/******************************************/
/* Ord. NoGlobalLoadLoop - Begin                                      */
/******************************************/


	;; [unrolled: 1-line block ×3, first 2 shown]
/* iter 0 */

/*  grEndMfmaIndex:2, lwStartMfmaIndex:4, lwEndMfmaIndex:21  */
/*  numMfmaForLR:1, barrierMfmaIndex:22, LocalWritePerMfma:0.180 */
/*  mfmaIndex:0  */
s_waitcnt lgkmcnt(0)                               // lgkmcnt=0 vmcnt=-1wait for prior local read local write old=0, new=0 newLW=0 newLR=0
v_mfma_f32_32x32x2f32 a[0+0:15+0], v[vgprValuA_X0_I0+0+0+0], v[vgprValuB_X0_I0+0+0+0], a[0:15]
/*  mfmaIndex:1  */
_ds_load_b32 v[vgprValuA_X1_I0+0], v[vgprLocalReadAddrA] offset:768 // L -> Reg lro=192 swapByteOffset=0 ti=64 vIdx=0 rIdx=0 oIdx=0 buffer=1 iui=0
_ds_load_b64 v[vgprValuB_X2_I0+0:vgprValuB_X2_I0+0+1], v[vgprLocalReadAddrB] offset:16 // L -> Reg lro=4 swapByteOffset=0 ti=64 vIdx=0 rIdx=0 oIdx=0 buffer=2 iui=0
_ds_load_b32 v[vgprValuA_X1_I0+1], v[vgprLocalReadAddrA] offset:1024 // L -> Reg lro=192 swapByteOffset=0 ti=64 vIdx=1 rIdx=0 oIdx=0 buffer=1 iui=0
_ds_load_b32 v[vgprValuA_X1_I0+2], v[vgprLocalReadAddrA] offset:1280 // L -> Reg lro=192 swapByteOffset=0 ti=64 vIdx=2 rIdx=0 oIdx=0 buffer=1 iui=0
/* localReadsVacancy: latencyLeft 5 */
_ds_load_b32 v[vgprValuA_X2_I0+0], v[vgprLocalReadAddrA] offset:3072 // L -> Reg lro=768 swapByteOffset=0 ti=64 vIdx=0 rIdx=0 oIdx=0 buffer=2 iui=0
_ds_load_b64 v[vgprValuB_X4_I0+0:vgprValuB_X4_I0+0+1], v[vgprLocalReadAddrB] offset:32 // L -> Reg lro=8 swapByteOffset=0 ti=64 vIdx=0 rIdx=0 oIdx=0 buffer=4 iui=0

/* global read inc A loopL */
s_add_u32 s[sgprSrdA+0], s[sgprSrdA+0], s[sgprGlobalReadIncsA+0] // gra SRD += inc(lower)
s_addc_u32  s[sgprSrdA+1], s[sgprSrdA+1], 0        // gra SRD += inc(upper)
s_sub_u32 s[sgprShadowLimitA+0], s[sgprShadowLimitA+0], s[sgprGlobalReadIncsA+0] // limit -= inc)
s_subb_u32 s[sgprShadowLimitA+1], s[sgprShadowLimitA+1], 0 // limit -= inc)
s_cmp_eq_u32 s[sgprShadowLimitA+1], 0              // are we within 2^32?
s_cmov_b32 s[sgprSrdA+2], s[sgprShadowLimitA+0]    // Move shadow to real if we are within 2^32

/* global read inc B loopL */
s_add_u32 s[sgprSrdB+0], s[sgprSrdB+0], s[sgprGlobalReadIncsB+0] // gra SRD += inc(lower)
v_mfma_f32_32x32x2f32 a[16+0:31+0], v[vgprValuA_X0_I0+1+0+0], v[vgprValuB_X0_I0+0+0+0], a[16:31]
/*  mfmaIndex:2  */
/* localReadsVacancy: latencyLeft 13 */
_ds_load_b32 v[vgprValuA_X2_I0+1], v[vgprLocalReadAddrA] offset:3328 // L -> Reg lro=768 swapByteOffset=0 ti=64 vIdx=1 rIdx=0 oIdx=0 buffer=2 iui=0
_ds_load_b32 v[vgprValuA_X2_I0+2], v[vgprLocalReadAddrA] offset:3584 // L -> Reg lro=768 swapByteOffset=0 ti=64 vIdx=2 rIdx=0 oIdx=0 buffer=2 iui=0
_ds_load_b32 v[vgprValuA_X3_I0+0], v[vgprLocalReadAddrA] offset:3840 // L -> Reg lro=960 swapByteOffset=0 ti=64 vIdx=0 rIdx=0 oIdx=0 buffer=3 iui=0
_ds_load_b64 v[vgprValuB_X6_I0+0:vgprValuB_X6_I0+0+1], v[vgprLocalReadAddrB] offset:48 // L -> Reg lro=12 swapByteOffset=0 ti=64 vIdx=0 rIdx=0 oIdx=0 buffer=6 iui=0
_ds_load_b32 v[vgprValuA_X3_I0+1], v[vgprLocalReadAddrA] offset:4096 // L -> Reg lro=960 swapByteOffset=0 ti=64 vIdx=1 rIdx=0 oIdx=0 buffer=3 iui=0
_ds_load_b32 v[vgprValuA_X3_I0+2], v[vgprLocalReadAddrA] offset:4352 // L -> Reg lro=960 swapByteOffset=0 ti=64 vIdx=2 rIdx=0 oIdx=0 buffer=3 iui=0
s_addc_u32  s[sgprSrdB+1], s[sgprSrdB+1], 0        // gra SRD += inc(upper)
s_sub_u32 s[sgprShadowLimitB+0], s[sgprShadowLimitB+0], s[sgprGlobalReadIncsB+0] // limit -= inc)
s_subb_u32 s[sgprShadowLimitB+1], s[sgprShadowLimitB+1], 0 // limit -= inc)
s_cmp_eq_u32 s[sgprShadowLimitB+1], 0              // are we within 2^32?
s_cmov_b32 s[sgprSrdB+2], s[sgprShadowLimitB+0]    // Move shadow to real if we are within 2^32
v_mfma_f32_32x32x2f32 a[32+0:47+0], v[vgprValuA_X0_I0+2+0+0], v[vgprValuB_X0_I0+0+0+0], a[32:47]
/* numPrefetchIter=0 */
/* dataAtIterA=-1 numReadsIterA=1 skipReadsIterA=1 readsPerIterA=3 */
/* dataAtIterB=-1 numReadsIterB=1 skipReadsIterB=1 readsPerIterB=1 */


/* iter 1 */

/*  grEndMfmaIndex:2, lwStartMfmaIndex:4, lwEndMfmaIndex:21  */
/*  numMfmaForLR:1, barrierMfmaIndex:22, LocalWritePerMfma:0.180 */
/*  mfmaIndex:3  */
/* localReadsVacancy: latencyLeft 13 */
_ds_load_b32 v[vgprValuA_X4_I0+0], v[vgprLocalReadAddrA] offset:6144 // L -> Reg lro=1536 swapByteOffset=0 ti=64 vIdx=0 rIdx=0 oIdx=0 buffer=4 iui=0
_ds_load_b32 v[vgprValuA_X4_I0+1], v[vgprLocalReadAddrA] offset:6400 // L -> Reg lro=1536 swapByteOffset=0 ti=64 vIdx=1 rIdx=0 oIdx=0 buffer=4 iui=0
	;; [unrolled: 1-line block ×3, first 2 shown]
_ds_load_b32 v[vgprValuA_X5_I0+0], v[vgprLocalReadAddrA] offset:6912 // L -> Reg lro=1728 swapByteOffset=0 ti=64 vIdx=0 rIdx=0 oIdx=0 buffer=5 iui=0
_ds_load_b32 v[vgprValuA_X5_I0+1], v[vgprLocalReadAddrA] offset:7168 // L -> Reg lro=1728 swapByteOffset=0 ti=64 vIdx=1 rIdx=0 oIdx=0 buffer=5 iui=0
	;; [unrolled: 1-line block ×3, first 2 shown]
s_waitcnt lgkmcnt(14)                              // lgkmcnt=0 vmcnt=-1wait for prior local read local write old=4, new=4 newLW=0 newLR=0
v_mfma_f32_32x32x2f32 a[0+0:15+0], v[vgprValuA_X1_I0+0+0+0], v[vgprValuB_X0_I0+0+1+0], a[0:15]
/*  mfmaIndex:4  */
/* localReadsVacancy: latencyLeft 3 */
_ds_load_b32 v[vgprValuA_X6_I0+0], v[vgprLocalReadAddrA] offset:9216 // L -> Reg lro=2304 swapByteOffset=0 ti=64 vIdx=0 rIdx=0 oIdx=0 buffer=6 iui=0
/* sched write - iter 1 writesPerItem=1 */
s_waitcnt vmcnt(0)                                 // lgkmcnt=-1 vmcnt=0wait for global read before writing to local
_ds_store_b128 v[vgprLocalWriteAddrA], v[vgprG2LA+0:vgprG2LA+0+3] offset:0 // lwoA_0_0_0_0 = (0*LSCA) + (0*LSPA)(*MT0I+PAD) = 0
v_mfma_f32_32x32x2f32 a[16+0:31+0], v[vgprValuA_X1_I0+1+0+0], v[vgprValuB_X0_I0+0+1+0], a[16:31]
/*  mfmaIndex:5  */
/* localReadsVacancy: latencyLeft 13 */
_ds_load_b32 v[vgprValuA_X6_I0+1], v[vgprLocalReadAddrA] offset:9472 // L -> Reg lro=2304 swapByteOffset=0 ti=64 vIdx=1 rIdx=0 oIdx=0 buffer=6 iui=0
_ds_load_b32 v[vgprValuA_X6_I0+2], v[vgprLocalReadAddrA] offset:9728 // L -> Reg lro=2304 swapByteOffset=0 ti=64 vIdx=2 rIdx=0 oIdx=0 buffer=6 iui=0
_ds_load_b32 v[vgprValuA_X7_I0+0], v[vgprLocalReadAddrA] offset:9984 // L -> Reg lro=2496 swapByteOffset=0 ti=64 vIdx=0 rIdx=0 oIdx=0 buffer=7 iui=0
_ds_load_b32 v[vgprValuA_X7_I0+1], v[vgprLocalReadAddrA] offset:10240 // L -> Reg lro=2496 swapByteOffset=0 ti=64 vIdx=1 rIdx=0 oIdx=0 buffer=7 iui=0
	;; [unrolled: 1-line block ×3, first 2 shown]
v_mfma_f32_32x32x2f32 a[32+0:47+0], v[vgprValuA_X1_I0+2+0+0], v[vgprValuB_X0_I0+0+1+0], a[32:47]
/* numPrefetchIter=0 */
/* dataAtIterA=0 numReadsIterA=2 skipReadsIterA=1 readsPerIterA=3 */
/* dataAtIterB=-1 numReadsIterB=2 skipReadsIterB=0 readsPerIterB=1 */


/* iter 2 */

/*  grEndMfmaIndex:2, lwStartMfmaIndex:4, lwEndMfmaIndex:21  */
/*  numMfmaForLR:1, barrierMfmaIndex:22, LocalWritePerMfma:0.180 */
/*  mfmaIndex:6  */
/* localReadsVacancy: latencyLeft 13 */
s_waitcnt lgkmcnt(13)                              // lgkmcnt=0 vmcnt=-1wait for prior local read local write old=0, new=1 newLW=1 newLR=0
v_mfma_f32_32x32x2f32 a[0+0:15+0], v[vgprValuA_X2_I0+0+0+0], v[vgprValuB_X2_I0+0+0+0], a[0:15]
/*  mfmaIndex:7  */
/* localReadsVacancy: latencyLeft 13 */
v_mfma_f32_32x32x2f32 a[16+0:31+0], v[vgprValuA_X2_I0+1+0+0], v[vgprValuB_X2_I0+0+0+0], a[16:31]
/*  mfmaIndex:8  */
/* localReadsVacancy: latencyLeft 13 */
v_mfma_f32_32x32x2f32 a[32+0:47+0], v[vgprValuA_X2_I0+2+0+0], v[vgprValuB_X2_I0+0+0+0], a[32:47]
/* numPrefetchIter=0 */
/* dataAtIterA=1 numReadsIterA=3 skipReadsIterA=1 readsPerIterA=3 */
/* dataAtIterB=0 numReadsIterB=3 skipReadsIterB=0 readsPerIterB=1 */


/* iter 3 */

/*  grEndMfmaIndex:2, lwStartMfmaIndex:4, lwEndMfmaIndex:21  */
/*  numMfmaForLR:1, barrierMfmaIndex:22, LocalWritePerMfma:0.180 */
/*  mfmaIndex:9  */
/* localReadsVacancy: latencyLeft 3 */
/* sched write - iter 3 writesPerItem=1 */
s_waitcnt vmcnt(0)                                 // lgkmcnt=-1 vmcnt=0wait for global read before writing to local
_ds_store_b128 v[vgprLocalWriteAddrA], v[vgprG2LA+4:vgprG2LA+4+3] offset:256 // lwoA_1_0_0_0 = (1*LSCA) + (0*LSPA)(*MT0I+PAD) = 256
s_waitcnt lgkmcnt(13)                              // lgkmcnt=0 vmcnt=-1wait for prior local read local write old=3, new=4 newLW=1 newLR=0
v_mfma_f32_32x32x2f32 a[0+0:15+0], v[vgprValuA_X3_I0+0+0+0], v[vgprValuB_X2_I0+0+1+0], a[0:15]
/*  mfmaIndex:10  */
/* localReadsVacancy: latencyLeft 13 */
v_mfma_f32_32x32x2f32 a[16+0:31+0], v[vgprValuA_X3_I0+1+0+0], v[vgprValuB_X2_I0+0+1+0], a[16:31]
/*  mfmaIndex:11  */
/* localReadsVacancy: latencyLeft 13 */
v_mfma_f32_32x32x2f32 a[32+0:47+0], v[vgprValuA_X3_I0+2+0+0], v[vgprValuB_X2_I0+0+1+0], a[32:47]
/* numPrefetchIter=0 */
/* dataAtIterA=2 numReadsIterA=4 skipReadsIterA=1 readsPerIterA=3 */
/* dataAtIterB=0 numReadsIterB=3 skipReadsIterB=0 readsPerIterB=1 */


/* iter 4 */

/*  grEndMfmaIndex:2, lwStartMfmaIndex:4, lwEndMfmaIndex:21  */
/*  numMfmaForLR:1, barrierMfmaIndex:22, LocalWritePerMfma:0.180 */
/*  mfmaIndex:12  */
/* localReadsVacancy: latencyLeft 13 */
s_waitcnt lgkmcnt(10)                              // lgkmcnt=0 vmcnt=-1wait for prior local read local write old=3, new=4 newLW=1 newLR=0
v_mfma_f32_32x32x2f32 a[0+0:15+0], v[vgprValuA_X4_I0+0+0+0], v[vgprValuB_X4_I0+0+0+0], a[0:15]
/*  mfmaIndex:13  */
/* localReadsVacancy: latencyLeft 13 */
v_mfma_f32_32x32x2f32 a[16+0:31+0], v[vgprValuA_X4_I0+1+0+0], v[vgprValuB_X4_I0+0+0+0], a[16:31]
/*  mfmaIndex:14  */
/* localReadsVacancy: latencyLeft 13 */
v_mfma_f32_32x32x2f32 a[32+0:47+0], v[vgprValuA_X4_I0+2+0+0], v[vgprValuB_X4_I0+0+0+0], a[32:47]
/* numPrefetchIter=0 */
/* dataAtIterA=3 numReadsIterA=5 skipReadsIterA=1 readsPerIterA=3 */
/* dataAtIterB=1 numReadsIterB=3 skipReadsIterB=0 readsPerIterB=1 */


/* iter 5 */

/*  grEndMfmaIndex:2, lwStartMfmaIndex:4, lwEndMfmaIndex:21  */
/*  numMfmaForLR:1, barrierMfmaIndex:22, LocalWritePerMfma:0.180 */
/*  mfmaIndex:15  */
/* localReadsVacancy: latencyLeft 3 */
/* sched write - iter 5 writesPerItem=1 */
s_waitcnt vmcnt(0)                                 // lgkmcnt=-1 vmcnt=0wait for global read before writing to local
_ds_store_b128 v[vgprLocalWriteAddrA], v[vgprG2LA+8:vgprG2LA+8+3] offset:512 // lwoA_2_0_0_0 = (2*LSCA) + (0*LSPA)(*MT0I+PAD) = 512
s_waitcnt lgkmcnt(7)                               // lgkmcnt=0 vmcnt=-1wait for prior local read local write old=3, new=4 newLW=1 newLR=0
v_mfma_f32_32x32x2f32 a[0+0:15+0], v[vgprValuA_X5_I0+0+0+0], v[vgprValuB_X4_I0+0+1+0], a[0:15]
/*  mfmaIndex:16  */
/* localReadsVacancy: latencyLeft 13 */
v_mfma_f32_32x32x2f32 a[16+0:31+0], v[vgprValuA_X5_I0+1+0+0], v[vgprValuB_X4_I0+0+1+0], a[16:31]
/*  mfmaIndex:17  */
/* localReadsVacancy: latencyLeft 13 */
v_mfma_f32_32x32x2f32 a[32+0:47+0], v[vgprValuA_X5_I0+2+0+0], v[vgprValuB_X4_I0+0+1+0], a[32:47]
/* numPrefetchIter=0 */
/* dataAtIterA=4 numReadsIterA=6 skipReadsIterA=1 readsPerIterA=3 */
/* dataAtIterB=1 numReadsIterB=3 skipReadsIterB=0 readsPerIterB=1 */


/* iter 6 (reset local read pointers iteration)  (swap local read pointers iteration)  */

/*  grEndMfmaIndex:2, lwStartMfmaIndex:4, lwEndMfmaIndex:21  */
/*  numMfmaForLR:1, barrierMfmaIndex:22, LocalWritePerMfma:0.180 */
/*  mfmaIndex:18  */
/* localReadsVacancy: latencyLeft 13 */
s_waitcnt lgkmcnt(4)                               // lgkmcnt=0 vmcnt=-1wait for prior local read local write old=3, new=4 newLW=1 newLR=0
v_mfma_f32_32x32x2f32 a[0+0:15+0], v[vgprValuA_X6_I0+0+0+0], v[vgprValuB_X6_I0+0+0+0], a[0:15]
/*  mfmaIndex:19  */
/* localReadsVacancy: latencyLeft 13 */
v_mfma_f32_32x32x2f32 a[16+0:31+0], v[vgprValuA_X6_I0+1+0+0], v[vgprValuB_X6_I0+0+0+0], a[16:31]
/*  mfmaIndex:20  */
/* localReadsVacancy: latencyLeft 3 */
/* sched write - iter 6 writesPerItem=1 */
s_waitcnt vmcnt(0)                                 // lgkmcnt=-1 vmcnt=0wait for global read before writing to local
_ds_store_b128 v[vgprLocalWriteAddrB], v[vgprG2LB+0:vgprG2LB+0+3] offset:0 // lwoB_0_0_0_0 = (0*LSCB)*(MT1J+PAD) + (0*LSPB) = 0

/* local read swap offsets a */
v_xor_b32 v[vgprLocalReadAddrA], 0x8000, v[vgprLocalReadAddrA] // swap Red Blk

/* local read swap offsets b */
v_xor_b32 v[vgprLocalReadAddrB], 0x8000, v[vgprLocalReadAddrB] // swap Red Blk

/* local read init pointers a */

/* localReadInitPointers */

/* local read init pointers b */

/* localReadInitPointers */
v_mfma_f32_32x32x2f32 a[32+0:47+0], v[vgprValuA_X6_I0+2+0+0], v[vgprValuB_X6_I0+0+0+0], a[32:47]
/* numPrefetchIter=0 */
/* dataAtIterA=5 numReadsIterA=7 skipReadsIterA=1 readsPerIterA=3 */
/* dataAtIterB=2 numReadsIterB=3 skipReadsIterB=0 readsPerIterB=1 */


/* iter 7 (swap and reset local write pointers iteration)  */

/*  grEndMfmaIndex:2, lwStartMfmaIndex:4, lwEndMfmaIndex:21  */
/*  numMfmaForLR:1, barrierMfmaIndex:22, LocalWritePerMfma:0.180 */
/*  mfmaIndex:21  */

/* local write swap offsets a */
v_xor_b32 v[vgprLocalWriteAddrA+0], 0x8000, v[vgprLocalWriteAddrA+0] // swap Red Blk

/* local write swap offsets b */
v_xor_b32 v[vgprLocalWriteAddrB+0], 0x8000, v[vgprLocalWriteAddrB+0] // swap Red Blk
s_waitcnt lgkmcnt(1)                               // lgkmcnt=0 vmcnt=-1wait for prior local read local write old=0, new=1 newLW=1 newLR=0
v_mfma_f32_32x32x2f32 a[0+0:15+0], v[vgprValuA_X7_I0+0+0+0], v[vgprValuB_X6_I0+0+1+0], a[0:15]
/*  mfmaIndex:22  */
s_waitcnt lgkmcnt(0)                               // lgkmcnt=0 vmcnt=-13wait for local write
// Skip force waitcnt0
s_barrier //
v_mfma_f32_32x32x2f32 a[16+0:31+0], v[vgprValuA_X7_I0+1+0+0], v[vgprValuB_X6_I0+0+1+0], a[16:31]
/*  mfmaIndex:23  */
_ds_load_b32 v[vgprValuA_X0_I0+0], v[vgprLocalReadAddrA] offset:0 // L -> Reg lro=0 swapByteOffset=0 ti=64 vIdx=0 rIdx=0 oIdx=0 buffer=0 iui=0
_ds_load_b64 v[vgprValuB_X0_I0+0:vgprValuB_X0_I0+0+1], v[vgprLocalReadAddrB] offset:0 // L -> Reg lro=0 swapByteOffset=0 ti=64 vIdx=0 rIdx=0 oIdx=0 buffer=0 iui=0
_ds_load_b32 v[vgprValuA_X0_I0+1], v[vgprLocalReadAddrA] offset:256 // L -> Reg lro=0 swapByteOffset=0 ti=64 vIdx=1 rIdx=0 oIdx=0 buffer=0 iui=0
_ds_load_b32 v[vgprValuA_X0_I0+2], v[vgprLocalReadAddrA] offset:512 // L -> Reg lro=0 swapByteOffset=0 ti=64 vIdx=2 rIdx=0 oIdx=0 buffer=0 iui=0
v_mfma_f32_32x32x2f32 a[32+0:47+0], v[vgprValuA_X7_I0+2+0+0], v[vgprValuB_X6_I0+0+1+0], a[32:47]
/* numPrefetchIter=1 */
/* dataAtIterA=6 numReadsIterA=7 skipReadsIterA=1 readsPerIterA=3 */
/* dataAtIterB=2 numReadsIterB=3 skipReadsIterB=1 readsPerIterB=1 */

label_0014:


/******************************************/
/* Opt. NoLoadLoop Without PAP - Begin                                      */
/******************************************/

s_cmpk_eq_u32 s[sgprBeta], 0x0                     // Beta == 0
s_cbranch_scc0 OptNLL_End_16                       // Branch if Beta is not zero

s_cmp_eq_u32 s[sgprAlpha], 1.0                     // Alpha == 1.0 ?
s_cbranch_scc0 OptNLL_End_16                       // branch if alpha != 1

s_mov_b32 s35, 0x0                                 // STATIC_DIV: divisior=192
s_mul_i32 s34, 0x2aa, s[sgprSizeI]                 // tmp1 = dividend * magic hi
s_lshl_b64 s[34:35], s[34:35], 0x10                // left shift 16 bits
s_mul_i32 s33, s[sgprSizeI], 0xaaab                // tmp0 = dividend * magic lo
s_add_u32 s34, s33, s34                            // add lo
s_addc_u32 s35, s35, 0x0                           // add hi
s_lshr_b64 s[34:35], s[34:35], 0x21                // tmp1 = (dividend * magic) << shift
s_mov_b32 s33, s34                                 // quotient
s_mul_i32 s34, s33, 0xc0                           // quotient*divisor
s_sub_u32 s32, s[sgprSizeI], s34                   // rReg = dividend - quotient*divisor
s_add_u32 s33, -0x1, s[sgprNumWorkGroups0]         // 
s_cmp_ge_u32 s[sgprWorkGroup0], s33                // wg0 >= nwg0-1 ?
s_cselect_b32 s32, s32, 0                          // set rMT0
s_cmpk_gt_u32 s32, 0x0                             // rMT0 > 0
s_cbranch_scc1 OptNLL_End_16                       // jump if edges required
s_and_b32 s32, 63, s[sgprSizeJ]                    // s32 = s[sgprSizeJ] % 64
s_add_u32 s33, -0x1, s[sgprNumWorkGroups1]         // 
s_cmp_ge_u32 s[sgprWorkGroup1], s33                // wg1 >= nwg1-1
s_cselect_b32 s32, s32, 0                          // set rMT1
s_cmpk_gt_u32 s32, 0x0                             // rMT1 > 0
s_cbranch_scc1 OptNLL_End_16                       // jump if edges required

s_and_b32 s33, 15, s[sgprSizesSum+0]               // s33 = s[sgprSizesSum+0] % 16
s_cmp_eq_u32 s33, 0x0                              // numIterL == 0
s_cbranch_scc0 OptNLL_End_16                       // skip if tail loop required


	;; [unrolled: 1-line block ×3, first 2 shown]
/* iter 0 (last unrolled loop) */

/*  grEndMfmaIndex:0, lwStartMfmaIndex:21, lwEndMfmaIndex:21  */
/*  numMfmaForLR:1, barrierMfmaIndex:22, LocalWritePerMfma:0.180 */
/*  mfmaIndex:0  */
s_waitcnt lgkmcnt(0)                               // lgkmcnt=0 vmcnt=-1wait for prior local read local write old=0, new=0 newLW=0 newLR=0
v_mfma_f32_32x32x2f32 a[0+0:15+0], v[vgprValuA_X0_I0+0+0+0], v[vgprValuB_X0_I0+0+0+0], a[0:15]
/*  mfmaIndex:1  */
_ds_load_b32 v[vgprValuA_X1_I0+0], v[vgprLocalReadAddrA] offset:768 // L -> Reg lro=192 swapByteOffset=0 ti=64 vIdx=0 rIdx=0 oIdx=0 buffer=1 iui=0
_ds_load_b64 v[vgprValuB_X2_I0+0:vgprValuB_X2_I0+0+1], v[vgprLocalReadAddrB] offset:16 // L -> Reg lro=4 swapByteOffset=0 ti=64 vIdx=0 rIdx=0 oIdx=0 buffer=2 iui=0
_ds_load_b32 v[vgprValuA_X1_I0+1], v[vgprLocalReadAddrA] offset:1024 // L -> Reg lro=192 swapByteOffset=0 ti=64 vIdx=1 rIdx=0 oIdx=0 buffer=1 iui=0
_ds_load_b32 v[vgprValuA_X1_I0+2], v[vgprLocalReadAddrA] offset:1280 // L -> Reg lro=192 swapByteOffset=0 ti=64 vIdx=2 rIdx=0 oIdx=0 buffer=1 iui=0
/* localReadsVacancy: latencyLeft 5 */
_ds_load_b32 v[vgprValuA_X2_I0+0], v[vgprLocalReadAddrA] offset:3072 // L -> Reg lro=768 swapByteOffset=0 ti=64 vIdx=0 rIdx=0 oIdx=0 buffer=2 iui=0
_ds_load_b64 v[vgprValuB_X4_I0+0:vgprValuB_X4_I0+0+1], v[vgprLocalReadAddrB] offset:32 // L -> Reg lro=8 swapByteOffset=0 ti=64 vIdx=0 rIdx=0 oIdx=0 buffer=4 iui=0
v_mfma_f32_32x32x2f32 a[16+0:31+0], v[vgprValuA_X0_I0+1+0+0], v[vgprValuB_X0_I0+0+0+0], a[16:31]
/*  mfmaIndex:2  */
/* localReadsVacancy: latencyLeft 13 */
_ds_load_b32 v[vgprValuA_X2_I0+1], v[vgprLocalReadAddrA] offset:3328 // L -> Reg lro=768 swapByteOffset=0 ti=64 vIdx=1 rIdx=0 oIdx=0 buffer=2 iui=0
_ds_load_b32 v[vgprValuA_X2_I0+2], v[vgprLocalReadAddrA] offset:3584 // L -> Reg lro=768 swapByteOffset=0 ti=64 vIdx=2 rIdx=0 oIdx=0 buffer=2 iui=0
_ds_load_b32 v[vgprValuA_X3_I0+0], v[vgprLocalReadAddrA] offset:3840 // L -> Reg lro=960 swapByteOffset=0 ti=64 vIdx=0 rIdx=0 oIdx=0 buffer=3 iui=0
_ds_load_b64 v[vgprValuB_X6_I0+0:vgprValuB_X6_I0+0+1], v[vgprLocalReadAddrB] offset:48 // L -> Reg lro=12 swapByteOffset=0 ti=64 vIdx=0 rIdx=0 oIdx=0 buffer=6 iui=0
_ds_load_b32 v[vgprValuA_X3_I0+1], v[vgprLocalReadAddrA] offset:4096 // L -> Reg lro=960 swapByteOffset=0 ti=64 vIdx=1 rIdx=0 oIdx=0 buffer=3 iui=0
_ds_load_b32 v[vgprValuA_X3_I0+2], v[vgprLocalReadAddrA] offset:4352 // L -> Reg lro=960 swapByteOffset=0 ti=64 vIdx=2 rIdx=0 oIdx=0 buffer=3 iui=0
v_mfma_f32_32x32x2f32 a[32+0:47+0], v[vgprValuA_X0_I0+2+0+0], v[vgprValuB_X0_I0+0+0+0], a[32:47]
/* numPrefetchIter=0 */
/* dataAtIterA=-1 numReadsIterA=1 skipReadsIterA=1 readsPerIterA=3 */
/* dataAtIterB=-1 numReadsIterB=1 skipReadsIterB=1 readsPerIterB=1 */


/* iter 1 (last unrolled loop) */

/*  grEndMfmaIndex:0, lwStartMfmaIndex:21, lwEndMfmaIndex:21  */
/*  numMfmaForLR:1, barrierMfmaIndex:22, LocalWritePerMfma:0.180 */
/*  mfmaIndex:3  */
/* localReadsVacancy: latencyLeft 13 */
_ds_load_b32 v[vgprValuA_X4_I0+0], v[vgprLocalReadAddrA] offset:6144 // L -> Reg lro=1536 swapByteOffset=0 ti=64 vIdx=0 rIdx=0 oIdx=0 buffer=4 iui=0
_ds_load_b32 v[vgprValuA_X4_I0+1], v[vgprLocalReadAddrA] offset:6400 // L -> Reg lro=1536 swapByteOffset=0 ti=64 vIdx=1 rIdx=0 oIdx=0 buffer=4 iui=0
	;; [unrolled: 1-line block ×3, first 2 shown]
_ds_load_b32 v[vgprValuA_X5_I0+0], v[vgprLocalReadAddrA] offset:6912 // L -> Reg lro=1728 swapByteOffset=0 ti=64 vIdx=0 rIdx=0 oIdx=0 buffer=5 iui=0
_ds_load_b32 v[vgprValuA_X5_I0+1], v[vgprLocalReadAddrA] offset:7168 // L -> Reg lro=1728 swapByteOffset=0 ti=64 vIdx=1 rIdx=0 oIdx=0 buffer=5 iui=0
	;; [unrolled: 1-line block ×3, first 2 shown]
s_waitcnt lgkmcnt(14)                              // lgkmcnt=0 vmcnt=-1wait for prior local read local write old=4, new=4 newLW=0 newLR=0
v_mfma_f32_32x32x2f32 a[0+0:15+0], v[vgprValuA_X1_I0+0+0+0], v[vgprValuB_X0_I0+0+1+0], a[0:15]
/*  mfmaIndex:4  */
/* localReadsVacancy: latencyLeft 13 */
_ds_load_b32 v[vgprValuA_X6_I0+0], v[vgprLocalReadAddrA] offset:9216 // L -> Reg lro=2304 swapByteOffset=0 ti=64 vIdx=0 rIdx=0 oIdx=0 buffer=6 iui=0
_ds_load_b32 v[vgprValuA_X6_I0+1], v[vgprLocalReadAddrA] offset:9472 // L -> Reg lro=2304 swapByteOffset=0 ti=64 vIdx=1 rIdx=0 oIdx=0 buffer=6 iui=0
	;; [unrolled: 1-line block ×3, first 2 shown]
_ds_load_b32 v[vgprValuA_X7_I0+0], v[vgprLocalReadAddrA] offset:9984 // L -> Reg lro=2496 swapByteOffset=0 ti=64 vIdx=0 rIdx=0 oIdx=0 buffer=7 iui=0
_ds_load_b32 v[vgprValuA_X7_I0+1], v[vgprLocalReadAddrA] offset:10240 // L -> Reg lro=2496 swapByteOffset=0 ti=64 vIdx=1 rIdx=0 oIdx=0 buffer=7 iui=0
	;; [unrolled: 1-line block ×3, first 2 shown]
v_mfma_f32_32x32x2f32 a[16+0:31+0], v[vgprValuA_X1_I0+1+0+0], v[vgprValuB_X0_I0+0+1+0], a[16:31]
/*  mfmaIndex:5  */
/* localReadsVacancy: latencyLeft 13 */
v_mfma_f32_32x32x2f32 a[32+0:47+0], v[vgprValuA_X1_I0+2+0+0], v[vgprValuB_X0_I0+0+1+0], a[32:47]
/* numPrefetchIter=0 */
/* dataAtIterA=0 numReadsIterA=2 skipReadsIterA=1 readsPerIterA=3 */
/* dataAtIterB=-1 numReadsIterB=2 skipReadsIterB=0 readsPerIterB=1 */


/* iter 2 (last unrolled loop) */

/*  grEndMfmaIndex:0, lwStartMfmaIndex:21, lwEndMfmaIndex:21  */
/*  numMfmaForLR:1, barrierMfmaIndex:22, LocalWritePerMfma:0.180 */
/*  mfmaIndex:6  */
/* localReadsVacancy: latencyLeft 13 */
s_waitcnt lgkmcnt(12)                              // lgkmcnt=0 vmcnt=-1wait for prior local read local write old=0, new=0 newLW=0 newLR=0
v_mfma_f32_32x32x2f32 a[0+0:15+0], v[vgprValuA_X2_I0+0+0+0], v[vgprValuB_X2_I0+0+0+0], a[0:15]
/*  mfmaIndex:7  */
/* localReadsVacancy: latencyLeft 13 */
v_mfma_f32_32x32x2f32 a[16+0:31+0], v[vgprValuA_X2_I0+1+0+0], v[vgprValuB_X2_I0+0+0+0], a[16:31]
/*  mfmaIndex:8  */
/* localReadsVacancy: latencyLeft 13 */
v_mfma_f32_32x32x2f32 a[32+0:47+0], v[vgprValuA_X2_I0+2+0+0], v[vgprValuB_X2_I0+0+0+0], a[32:47]
/* numPrefetchIter=0 */
/* dataAtIterA=1 numReadsIterA=3 skipReadsIterA=1 readsPerIterA=3 */
/* dataAtIterB=0 numReadsIterB=3 skipReadsIterB=0 readsPerIterB=1 */


/* iter 3 (last unrolled loop) */

/*  grEndMfmaIndex:0, lwStartMfmaIndex:21, lwEndMfmaIndex:21  */
/*  numMfmaForLR:1, barrierMfmaIndex:22, LocalWritePerMfma:0.180 */
/*  mfmaIndex:9  */
/* localReadsVacancy: latencyLeft 13 */
s_waitcnt lgkmcnt(12)                              // lgkmcnt=0 vmcnt=-1wait for prior local read local write old=3, new=3 newLW=0 newLR=0
v_mfma_f32_32x32x2f32 a[0+0:15+0], v[vgprValuA_X3_I0+0+0+0], v[vgprValuB_X2_I0+0+1+0], a[0:15]
/*  mfmaIndex:10  */
/* localReadsVacancy: latencyLeft 13 */
v_mfma_f32_32x32x2f32 a[16+0:31+0], v[vgprValuA_X3_I0+1+0+0], v[vgprValuB_X2_I0+0+1+0], a[16:31]
/*  mfmaIndex:11  */
/* localReadsVacancy: latencyLeft 13 */
v_mfma_f32_32x32x2f32 a[32+0:47+0], v[vgprValuA_X3_I0+2+0+0], v[vgprValuB_X2_I0+0+1+0], a[32:47]
/* numPrefetchIter=0 */
/* dataAtIterA=2 numReadsIterA=4 skipReadsIterA=1 readsPerIterA=3 */
/* dataAtIterB=0 numReadsIterB=3 skipReadsIterB=0 readsPerIterB=1 */


/* iter 4 (last unrolled loop) */

/*  grEndMfmaIndex:0, lwStartMfmaIndex:21, lwEndMfmaIndex:21  */
/*  numMfmaForLR:1, barrierMfmaIndex:22, LocalWritePerMfma:0.180 */
/*  mfmaIndex:12  */
/* localReadsVacancy: latencyLeft 13 */
s_waitcnt lgkmcnt(9)                               // lgkmcnt=0 vmcnt=-1wait for prior local read local write old=3, new=3 newLW=0 newLR=0
v_mfma_f32_32x32x2f32 a[0+0:15+0], v[vgprValuA_X4_I0+0+0+0], v[vgprValuB_X4_I0+0+0+0], a[0:15]
/*  mfmaIndex:13  */
/* localReadsVacancy: latencyLeft 13 */
v_mfma_f32_32x32x2f32 a[16+0:31+0], v[vgprValuA_X4_I0+1+0+0], v[vgprValuB_X4_I0+0+0+0], a[16:31]
/*  mfmaIndex:14  */
/* localReadsVacancy: latencyLeft 13 */
v_mfma_f32_32x32x2f32 a[32+0:47+0], v[vgprValuA_X4_I0+2+0+0], v[vgprValuB_X4_I0+0+0+0], a[32:47]
/* numPrefetchIter=0 */
/* dataAtIterA=3 numReadsIterA=5 skipReadsIterA=1 readsPerIterA=3 */
/* dataAtIterB=1 numReadsIterB=3 skipReadsIterB=0 readsPerIterB=1 */


/* iter 5 (last unrolled loop) */

/*  grEndMfmaIndex:0, lwStartMfmaIndex:21, lwEndMfmaIndex:21  */
/*  numMfmaForLR:1, barrierMfmaIndex:22, LocalWritePerMfma:0.180 */
/*  mfmaIndex:15  */
/* localReadsVacancy: latencyLeft 13 */
s_waitcnt lgkmcnt(6)                               // lgkmcnt=0 vmcnt=-1wait for prior local read local write old=3, new=3 newLW=0 newLR=0
v_mfma_f32_32x32x2f32 a[0+0:15+0], v[vgprValuA_X5_I0+0+0+0], v[vgprValuB_X4_I0+0+1+0], a[0:15]
/*  mfmaIndex:16  */
/* localReadsVacancy: latencyLeft 13 */
v_mfma_f32_32x32x2f32 a[16+0:31+0], v[vgprValuA_X5_I0+1+0+0], v[vgprValuB_X4_I0+0+1+0], a[16:31]
/*  mfmaIndex:17  */
/* localReadsVacancy: latencyLeft 13 */
v_mfma_f32_32x32x2f32 a[32+0:47+0], v[vgprValuA_X5_I0+2+0+0], v[vgprValuB_X4_I0+0+1+0], a[32:47]
/* numPrefetchIter=0 */
/* dataAtIterA=4 numReadsIterA=6 skipReadsIterA=1 readsPerIterA=3 */
/* dataAtIterB=1 numReadsIterB=3 skipReadsIterB=0 readsPerIterB=1 */


/* iter 6 (last unrolled loop) */

/*  grEndMfmaIndex:0, lwStartMfmaIndex:21, lwEndMfmaIndex:21  */
/*  numMfmaForLR:1, barrierMfmaIndex:22, LocalWritePerMfma:0.180 */
/*  mfmaIndex:18  */
/* localReadsVacancy: latencyLeft 13 */
s_waitcnt lgkmcnt(3)                               // lgkmcnt=0 vmcnt=-1wait for prior local read local write old=3, new=3 newLW=0 newLR=0
v_mfma_f32_32x32x2f32 a[0+0:15+0], v[vgprValuA_X6_I0+0+0+0], v[vgprValuB_X6_I0+0+0+0], a[0:15]
/*  mfmaIndex:19  */
/* localReadsVacancy: latencyLeft 13 */
v_mfma_f32_32x32x2f32 a[16+0:31+0], v[vgprValuA_X6_I0+1+0+0], v[vgprValuB_X6_I0+0+0+0], a[16:31]
/*  mfmaIndex:20  */
/* localReadsVacancy: latencyLeft 13 */
v_mfma_f32_32x32x2f32 a[32+0:47+0], v[vgprValuA_X6_I0+2+0+0], v[vgprValuB_X6_I0+0+0+0], a[32:47]
/* numPrefetchIter=0 */
/* dataAtIterA=5 numReadsIterA=7 skipReadsIterA=1 readsPerIterA=3 */
/* dataAtIterB=2 numReadsIterB=3 skipReadsIterB=0 readsPerIterB=1 */


/* iter 7 (last unrolled loop) */

/*  grEndMfmaIndex:0, lwStartMfmaIndex:21, lwEndMfmaIndex:21  */
/*  numMfmaForLR:1, barrierMfmaIndex:22, LocalWritePerMfma:0.180 */
/*  mfmaIndex:21  */
s_waitcnt lgkmcnt(0)                               // lgkmcnt=0 vmcnt=-1wait for prior local read local write old=0, new=0 newLW=0 newLR=0
v_mfma_f32_32x32x2f32 a[0+0:15+0], v[vgprValuA_X7_I0+0+0+0], v[vgprValuB_X6_I0+0+1+0], a[0:15]
/*  mfmaIndex:22  */
v_mfma_f32_32x32x2f32 a[16+0:31+0], v[vgprValuA_X7_I0+1+0+0], v[vgprValuB_X6_I0+0+1+0], a[16:31]
/*  mfmaIndex:23  */
v_mfma_f32_32x32x2f32 a[32+0:47+0], v[vgprValuA_X7_I0+2+0+0], v[vgprValuB_X6_I0+0+1+0], a[32:47]
/* numPrefetchIter=0 */
/* dataAtIterA=6 numReadsIterA=7 skipReadsIterA=0 readsPerIterA=3 */
/* dataAtIterB=2 numReadsIterB=3 skipReadsIterB=0 readsPerIterB=1 */

/* Stores for OptNLL */
Summation_End_OptNLL_17:
/* endSummation: add vgpr [0...54) to pool */

/* Mapping of Acc register -> C Vgpr register */
/* computeStoreVgprs */
v_lshrrev_b32 v4, 6, v[vgprSerial]                 // v4 = v[vgprSerial] / 64
v_lshrrev_b32 v1, 1, v4                            // v1 = v4 / 2
v_mul_lo_u32 v1, 0x20, v1                          // wave coordination offset 1
v_and_b32 v5, 31, v[vgprSerial]                    // v5 = v[vgprSerial] % 32
_v_add_lshl_u32 v1, v5, v1, 0                      // coordination 1 = vwb *(wave_id1 + tid1)
v_mul_lo_u32 v2, v1, s[sgprStrideC1J]              //  offset 1
v_mul_lo_u32 v3, v1, s[sgprStrideD1J]              //  offset 1
v_and_b32 v0, 63, v[vgprSerial]                    // v0 = v[vgprSerial] % 64
v_lshrrev_b32 v0, 5, v0                            // v0 = v0 / 32
v_lshlrev_b32 v0, 0x2, v0                          // thread0 * continuous_output
v_and_b32 v5, 1, v4                                // v5 = v4 % 2
v_mul_lo_u32 v5, 0x20, v5                          // wave coordination offset 0
_v_add_lshl_u32 v0, v5, v0, 0                      // coordination 0 = vwa *(wave_id0 + tid0)
s_mul_i32 s31, 192, s[sgprWorkGroup0]              // wgp0 * MT0
_v_add_u32 v0, s31, v0                             // coord 0 = (tid0/MI_m)*4 + waveG0*MIB_m + MT0*SG0
s_mul_i32 s31, 64, s[sgprWorkGroup1]               // wgp1 * MT1
_v_add_u32 v1, s31, v1                             // coord 1 = (tid0%MI_m) + waveG1*MIB_n + MT1*SG1
GW_B0_E0_20:

/* edge=0, allocate 2 sgpr. perBatchTmpS=2 perBatchMaskS=0 perElementMaskS=0 elementsPerBatch=60 */
/* optSingleColVgpr=1 optSharedColVgpr=0 optSGPRUsage=BufferLoad_Mask optSrdIncForRow=1 */

/******************************************/
/* Global Write Batch #0 (d1,d0,vc1,vc0) = */
/*    (0,0,0,0:vw4); (0,1,0,0:vw4); (0,2,0,0:vw4); (0,3,0,0:vw4); (0,4,0,0:vw4); (0,5,0,0:vw4); (0,6,0,0:vw4); (0,7,0,0:vw4); (0,8,0,0:vw4); (0,9,0,0:vw4); (0,10,0,0:vw4); (0,11,0,0:vw4) */
/******************************************/

/* calc coords, apply mask, and issue loads (if necessary) */
/* (d1,vc1,d0,vc0)=(0,0,0,0) */
/* (d1,vc1,d0,vc0)=(0,0,1,0) */
	;; [unrolled: 1-line block ×12, first 2 shown]
_v_add_lshl_u32 v6, v3, v0, 0x2                    // optSingleColVgpr scaleToBpe: sharedAddrVgpr <- cinRowPtr + coord0, scaled by BPE. BSHERE:coord0=0, coord0Vgpr=0
v_accvgpr_read_b32 v[vgprValuC+8], acc0 // copy acc to vreg[0]
v_accvgpr_read_b32 v[vgprValuC+9], acc1 // copy acc to vreg[1]
v_accvgpr_read_b32 v[vgprValuC+10], acc2 // copy acc to vreg[2]
v_accvgpr_read_b32 v[vgprValuC+11], acc3 // copy acc to vreg[3]
v_accvgpr_read_b32 v[vgprValuC+12], acc4 // copy acc to vreg[4]
v_accvgpr_read_b32 v[vgprValuC+13], acc5 // copy acc to vreg[5]
v_accvgpr_read_b32 v[vgprValuC+14], acc6 // copy acc to vreg[6]
v_accvgpr_read_b32 v[vgprValuC+15], acc7 // copy acc to vreg[7]
v_accvgpr_read_b32 v[vgprValuC+16], acc8 // copy acc to vreg[8]
v_accvgpr_read_b32 v[vgprValuC+17], acc9 // copy acc to vreg[9]
v_accvgpr_read_b32 v[vgprValuC+18], acc10 // copy acc to vreg[10]
v_accvgpr_read_b32 v[vgprValuC+19], acc11 // copy acc to vreg[11]
v_accvgpr_read_b32 v[vgprValuC+20], acc12 // copy acc to vreg[12]
v_accvgpr_read_b32 v[vgprValuC+21], acc13 // copy acc to vreg[13]
v_accvgpr_read_b32 v[vgprValuC+22], acc14 // copy acc to vreg[14]
v_accvgpr_read_b32 v[vgprValuC+23], acc15 // copy acc to vreg[15]
v_accvgpr_read_b32 v[vgprValuC+24], acc16 // copy acc to vreg[16]
v_accvgpr_read_b32 v[vgprValuC+25], acc17 // copy acc to vreg[17]
v_accvgpr_read_b32 v[vgprValuC+26], acc18 // copy acc to vreg[18]
v_accvgpr_read_b32 v[vgprValuC+27], acc19 // copy acc to vreg[19]
v_accvgpr_read_b32 v[vgprValuC+28], acc20 // copy acc to vreg[20]
v_accvgpr_read_b32 v[vgprValuC+29], acc21 // copy acc to vreg[21]
v_accvgpr_read_b32 v[vgprValuC+30], acc22 // copy acc to vreg[22]
v_accvgpr_read_b32 v[vgprValuC+31], acc23 // copy acc to vreg[23]
v_accvgpr_read_b32 v[vgprValuC+32], acc24 // copy acc to vreg[24]
v_accvgpr_read_b32 v[vgprValuC+33], acc25 // copy acc to vreg[25]
v_accvgpr_read_b32 v[vgprValuC+34], acc26 // copy acc to vreg[26]
v_accvgpr_read_b32 v[vgprValuC+35], acc27 // copy acc to vreg[27]
v_accvgpr_read_b32 v[vgprValuC+36], acc28 // copy acc to vreg[28]
v_accvgpr_read_b32 v[vgprValuC+37], acc29 // copy acc to vreg[29]
v_accvgpr_read_b32 v[vgprValuC+38], acc30 // copy acc to vreg[30]
v_accvgpr_read_b32 v[vgprValuC+39], acc31 // copy acc to vreg[31]
v_accvgpr_read_b32 v[vgprValuC+40], acc32 // copy acc to vreg[32]
v_accvgpr_read_b32 v[vgprValuC+41], acc33 // copy acc to vreg[33]
v_accvgpr_read_b32 v[vgprValuC+42], acc34 // copy acc to vreg[34]
v_accvgpr_read_b32 v[vgprValuC+43], acc35 // copy acc to vreg[35]
v_accvgpr_read_b32 v[vgprValuC+44], acc36 // copy acc to vreg[36]
v_accvgpr_read_b32 v[vgprValuC+45], acc37 // copy acc to vreg[37]
v_accvgpr_read_b32 v[vgprValuC+46], acc38 // copy acc to vreg[38]
v_accvgpr_read_b32 v[vgprValuC+47], acc39 // copy acc to vreg[39]
v_accvgpr_read_b32 v[vgprValuC+48], acc40 // copy acc to vreg[40]
v_accvgpr_read_b32 v[vgprValuC+49], acc41 // copy acc to vreg[41]
v_accvgpr_read_b32 v[vgprValuC+50], acc42 // copy acc to vreg[42]
v_accvgpr_read_b32 v[vgprValuC+51], acc43 // copy acc to vreg[43]
v_accvgpr_read_b32 v[vgprValuC+60], acc44 // copy acc to vreg[44]
v_accvgpr_read_b32 v[vgprValuC+61], acc45 // copy acc to vreg[45]
v_accvgpr_read_b32 v[vgprValuC+62], acc46 // copy acc to vreg[46]
v_accvgpr_read_b32 v[vgprValuC+63], acc47 // copy acc to vreg[47]
s_nop 1                                            // 2 wait states required before reading vgpr

/* apply mask, calc new C and issue writes */
_buffer_store_b128 v[8:11], v6, s[sgprSrdD:sgprSrdD+3], 0, offen, offset:0 // store D
_buffer_store_b128 v[12:15], v6, s[sgprSrdD:sgprSrdD+3], 0, offen, offset:32 // store D
	;; [unrolled: 1-line block ×12, first 2 shown]
s_nop 0                                            // 1 wait state required when next inst writes vgprs held by previous dwordx4 store inst
s_branch label_GW_End_22                           // jump to end
label_GW_End_22:

s_endpgm                                           // Kernel End
OptNLL_End_16:


/******************************************/
/* Ord. NoLoadLoop - Begin                                      */
/******************************************/


	;; [unrolled: 1-line block ×4, first 2 shown]
/* iter 0 (last unrolled loop) */

/*  grEndMfmaIndex:0, lwStartMfmaIndex:21, lwEndMfmaIndex:21  */
/*  numMfmaForLR:1, barrierMfmaIndex:22, LocalWritePerMfma:0.180 */
/*  mfmaIndex:0  */
s_waitcnt lgkmcnt(0)                               // lgkmcnt=0 vmcnt=-1wait for prior local read local write old=0, new=0 newLW=0 newLR=0
v_mfma_f32_32x32x2f32 a[0+0:15+0], v[vgprValuA_X0_I0+0+0+0], v[vgprValuB_X0_I0+0+0+0], a[0:15]
/*  mfmaIndex:1  */
_ds_load_b32 v[vgprValuA_X1_I0+0], v[vgprLocalReadAddrA] offset:768 // L -> Reg lro=192 swapByteOffset=0 ti=64 vIdx=0 rIdx=0 oIdx=0 buffer=1 iui=0
_ds_load_b64 v[vgprValuB_X2_I0+0:vgprValuB_X2_I0+0+1], v[vgprLocalReadAddrB] offset:16 // L -> Reg lro=4 swapByteOffset=0 ti=64 vIdx=0 rIdx=0 oIdx=0 buffer=2 iui=0
_ds_load_b32 v[vgprValuA_X1_I0+1], v[vgprLocalReadAddrA] offset:1024 // L -> Reg lro=192 swapByteOffset=0 ti=64 vIdx=1 rIdx=0 oIdx=0 buffer=1 iui=0
_ds_load_b32 v[vgprValuA_X1_I0+2], v[vgprLocalReadAddrA] offset:1280 // L -> Reg lro=192 swapByteOffset=0 ti=64 vIdx=2 rIdx=0 oIdx=0 buffer=1 iui=0
/* localReadsVacancy: latencyLeft 5 */
_ds_load_b32 v[vgprValuA_X2_I0+0], v[vgprLocalReadAddrA] offset:3072 // L -> Reg lro=768 swapByteOffset=0 ti=64 vIdx=0 rIdx=0 oIdx=0 buffer=2 iui=0
_ds_load_b64 v[vgprValuB_X4_I0+0:vgprValuB_X4_I0+0+1], v[vgprLocalReadAddrB] offset:32 // L -> Reg lro=8 swapByteOffset=0 ti=64 vIdx=0 rIdx=0 oIdx=0 buffer=4 iui=0
v_mfma_f32_32x32x2f32 a[16+0:31+0], v[vgprValuA_X0_I0+1+0+0], v[vgprValuB_X0_I0+0+0+0], a[16:31]
/*  mfmaIndex:2  */
/* localReadsVacancy: latencyLeft 13 */
_ds_load_b32 v[vgprValuA_X2_I0+1], v[vgprLocalReadAddrA] offset:3328 // L -> Reg lro=768 swapByteOffset=0 ti=64 vIdx=1 rIdx=0 oIdx=0 buffer=2 iui=0
_ds_load_b32 v[vgprValuA_X2_I0+2], v[vgprLocalReadAddrA] offset:3584 // L -> Reg lro=768 swapByteOffset=0 ti=64 vIdx=2 rIdx=0 oIdx=0 buffer=2 iui=0
_ds_load_b32 v[vgprValuA_X3_I0+0], v[vgprLocalReadAddrA] offset:3840 // L -> Reg lro=960 swapByteOffset=0 ti=64 vIdx=0 rIdx=0 oIdx=0 buffer=3 iui=0
_ds_load_b64 v[vgprValuB_X6_I0+0:vgprValuB_X6_I0+0+1], v[vgprLocalReadAddrB] offset:48 // L -> Reg lro=12 swapByteOffset=0 ti=64 vIdx=0 rIdx=0 oIdx=0 buffer=6 iui=0
_ds_load_b32 v[vgprValuA_X3_I0+1], v[vgprLocalReadAddrA] offset:4096 // L -> Reg lro=960 swapByteOffset=0 ti=64 vIdx=1 rIdx=0 oIdx=0 buffer=3 iui=0
_ds_load_b32 v[vgprValuA_X3_I0+2], v[vgprLocalReadAddrA] offset:4352 // L -> Reg lro=960 swapByteOffset=0 ti=64 vIdx=2 rIdx=0 oIdx=0 buffer=3 iui=0
v_mfma_f32_32x32x2f32 a[32+0:47+0], v[vgprValuA_X0_I0+2+0+0], v[vgprValuB_X0_I0+0+0+0], a[32:47]
/* numPrefetchIter=0 */
/* dataAtIterA=-1 numReadsIterA=1 skipReadsIterA=1 readsPerIterA=3 */
/* dataAtIterB=-1 numReadsIterB=1 skipReadsIterB=1 readsPerIterB=1 */


/* iter 1 (last unrolled loop) */

/*  grEndMfmaIndex:0, lwStartMfmaIndex:21, lwEndMfmaIndex:21  */
/*  numMfmaForLR:1, barrierMfmaIndex:22, LocalWritePerMfma:0.180 */
/*  mfmaIndex:3  */
/* localReadsVacancy: latencyLeft 13 */
_ds_load_b32 v[vgprValuA_X4_I0+0], v[vgprLocalReadAddrA] offset:6144 // L -> Reg lro=1536 swapByteOffset=0 ti=64 vIdx=0 rIdx=0 oIdx=0 buffer=4 iui=0
_ds_load_b32 v[vgprValuA_X4_I0+1], v[vgprLocalReadAddrA] offset:6400 // L -> Reg lro=1536 swapByteOffset=0 ti=64 vIdx=1 rIdx=0 oIdx=0 buffer=4 iui=0
	;; [unrolled: 1-line block ×3, first 2 shown]
_ds_load_b32 v[vgprValuA_X5_I0+0], v[vgprLocalReadAddrA] offset:6912 // L -> Reg lro=1728 swapByteOffset=0 ti=64 vIdx=0 rIdx=0 oIdx=0 buffer=5 iui=0
_ds_load_b32 v[vgprValuA_X5_I0+1], v[vgprLocalReadAddrA] offset:7168 // L -> Reg lro=1728 swapByteOffset=0 ti=64 vIdx=1 rIdx=0 oIdx=0 buffer=5 iui=0
	;; [unrolled: 1-line block ×3, first 2 shown]
s_waitcnt lgkmcnt(14)                              // lgkmcnt=0 vmcnt=-1wait for prior local read local write old=4, new=4 newLW=0 newLR=0
v_mfma_f32_32x32x2f32 a[0+0:15+0], v[vgprValuA_X1_I0+0+0+0], v[vgprValuB_X0_I0+0+1+0], a[0:15]
/*  mfmaIndex:4  */
/* localReadsVacancy: latencyLeft 13 */
_ds_load_b32 v[vgprValuA_X6_I0+0], v[vgprLocalReadAddrA] offset:9216 // L -> Reg lro=2304 swapByteOffset=0 ti=64 vIdx=0 rIdx=0 oIdx=0 buffer=6 iui=0
_ds_load_b32 v[vgprValuA_X6_I0+1], v[vgprLocalReadAddrA] offset:9472 // L -> Reg lro=2304 swapByteOffset=0 ti=64 vIdx=1 rIdx=0 oIdx=0 buffer=6 iui=0
	;; [unrolled: 1-line block ×3, first 2 shown]
_ds_load_b32 v[vgprValuA_X7_I0+0], v[vgprLocalReadAddrA] offset:9984 // L -> Reg lro=2496 swapByteOffset=0 ti=64 vIdx=0 rIdx=0 oIdx=0 buffer=7 iui=0
_ds_load_b32 v[vgprValuA_X7_I0+1], v[vgprLocalReadAddrA] offset:10240 // L -> Reg lro=2496 swapByteOffset=0 ti=64 vIdx=1 rIdx=0 oIdx=0 buffer=7 iui=0
	;; [unrolled: 1-line block ×3, first 2 shown]
v_mfma_f32_32x32x2f32 a[16+0:31+0], v[vgprValuA_X1_I0+1+0+0], v[vgprValuB_X0_I0+0+1+0], a[16:31]
/*  mfmaIndex:5  */
/* localReadsVacancy: latencyLeft 13 */
v_mfma_f32_32x32x2f32 a[32+0:47+0], v[vgprValuA_X1_I0+2+0+0], v[vgprValuB_X0_I0+0+1+0], a[32:47]
/* numPrefetchIter=0 */
/* dataAtIterA=0 numReadsIterA=2 skipReadsIterA=1 readsPerIterA=3 */
/* dataAtIterB=-1 numReadsIterB=2 skipReadsIterB=0 readsPerIterB=1 */


/* iter 2 (last unrolled loop) */

/*  grEndMfmaIndex:0, lwStartMfmaIndex:21, lwEndMfmaIndex:21  */
/*  numMfmaForLR:1, barrierMfmaIndex:22, LocalWritePerMfma:0.180 */
/*  mfmaIndex:6  */
/* localReadsVacancy: latencyLeft 13 */
s_waitcnt lgkmcnt(12)                              // lgkmcnt=0 vmcnt=-1wait for prior local read local write old=0, new=0 newLW=0 newLR=0
v_mfma_f32_32x32x2f32 a[0+0:15+0], v[vgprValuA_X2_I0+0+0+0], v[vgprValuB_X2_I0+0+0+0], a[0:15]
/*  mfmaIndex:7  */
/* localReadsVacancy: latencyLeft 13 */
v_mfma_f32_32x32x2f32 a[16+0:31+0], v[vgprValuA_X2_I0+1+0+0], v[vgprValuB_X2_I0+0+0+0], a[16:31]
/*  mfmaIndex:8  */
/* localReadsVacancy: latencyLeft 13 */
v_mfma_f32_32x32x2f32 a[32+0:47+0], v[vgprValuA_X2_I0+2+0+0], v[vgprValuB_X2_I0+0+0+0], a[32:47]
/* numPrefetchIter=0 */
/* dataAtIterA=1 numReadsIterA=3 skipReadsIterA=1 readsPerIterA=3 */
/* dataAtIterB=0 numReadsIterB=3 skipReadsIterB=0 readsPerIterB=1 */


/* iter 3 (last unrolled loop) */

/*  grEndMfmaIndex:0, lwStartMfmaIndex:21, lwEndMfmaIndex:21  */
/*  numMfmaForLR:1, barrierMfmaIndex:22, LocalWritePerMfma:0.180 */
/*  mfmaIndex:9  */
/* localReadsVacancy: latencyLeft 13 */
s_waitcnt lgkmcnt(12)                              // lgkmcnt=0 vmcnt=-1wait for prior local read local write old=3, new=3 newLW=0 newLR=0
v_mfma_f32_32x32x2f32 a[0+0:15+0], v[vgprValuA_X3_I0+0+0+0], v[vgprValuB_X2_I0+0+1+0], a[0:15]
/*  mfmaIndex:10  */
/* localReadsVacancy: latencyLeft 13 */
v_mfma_f32_32x32x2f32 a[16+0:31+0], v[vgprValuA_X3_I0+1+0+0], v[vgprValuB_X2_I0+0+1+0], a[16:31]
/*  mfmaIndex:11  */
/* localReadsVacancy: latencyLeft 13 */
v_mfma_f32_32x32x2f32 a[32+0:47+0], v[vgprValuA_X3_I0+2+0+0], v[vgprValuB_X2_I0+0+1+0], a[32:47]
/* numPrefetchIter=0 */
/* dataAtIterA=2 numReadsIterA=4 skipReadsIterA=1 readsPerIterA=3 */
/* dataAtIterB=0 numReadsIterB=3 skipReadsIterB=0 readsPerIterB=1 */


/* iter 4 (last unrolled loop) */

/*  grEndMfmaIndex:0, lwStartMfmaIndex:21, lwEndMfmaIndex:21  */
/*  numMfmaForLR:1, barrierMfmaIndex:22, LocalWritePerMfma:0.180 */
/*  mfmaIndex:12  */
/* localReadsVacancy: latencyLeft 13 */
s_waitcnt lgkmcnt(9)                               // lgkmcnt=0 vmcnt=-1wait for prior local read local write old=3, new=3 newLW=0 newLR=0
v_mfma_f32_32x32x2f32 a[0+0:15+0], v[vgprValuA_X4_I0+0+0+0], v[vgprValuB_X4_I0+0+0+0], a[0:15]
/*  mfmaIndex:13  */
/* localReadsVacancy: latencyLeft 13 */
v_mfma_f32_32x32x2f32 a[16+0:31+0], v[vgprValuA_X4_I0+1+0+0], v[vgprValuB_X4_I0+0+0+0], a[16:31]
/*  mfmaIndex:14  */
/* localReadsVacancy: latencyLeft 13 */
v_mfma_f32_32x32x2f32 a[32+0:47+0], v[vgprValuA_X4_I0+2+0+0], v[vgprValuB_X4_I0+0+0+0], a[32:47]
/* numPrefetchIter=0 */
/* dataAtIterA=3 numReadsIterA=5 skipReadsIterA=1 readsPerIterA=3 */
/* dataAtIterB=1 numReadsIterB=3 skipReadsIterB=0 readsPerIterB=1 */


/* iter 5 (last unrolled loop) */

/*  grEndMfmaIndex:0, lwStartMfmaIndex:21, lwEndMfmaIndex:21  */
/*  numMfmaForLR:1, barrierMfmaIndex:22, LocalWritePerMfma:0.180 */
/*  mfmaIndex:15  */
/* localReadsVacancy: latencyLeft 13 */
s_waitcnt lgkmcnt(6)                               // lgkmcnt=0 vmcnt=-1wait for prior local read local write old=3, new=3 newLW=0 newLR=0
v_mfma_f32_32x32x2f32 a[0+0:15+0], v[vgprValuA_X5_I0+0+0+0], v[vgprValuB_X4_I0+0+1+0], a[0:15]
/*  mfmaIndex:16  */
/* localReadsVacancy: latencyLeft 13 */
v_mfma_f32_32x32x2f32 a[16+0:31+0], v[vgprValuA_X5_I0+1+0+0], v[vgprValuB_X4_I0+0+1+0], a[16:31]
/*  mfmaIndex:17  */
/* localReadsVacancy: latencyLeft 13 */
v_mfma_f32_32x32x2f32 a[32+0:47+0], v[vgprValuA_X5_I0+2+0+0], v[vgprValuB_X4_I0+0+1+0], a[32:47]
/* numPrefetchIter=0 */
/* dataAtIterA=4 numReadsIterA=6 skipReadsIterA=1 readsPerIterA=3 */
/* dataAtIterB=1 numReadsIterB=3 skipReadsIterB=0 readsPerIterB=1 */


/* iter 6 (last unrolled loop) */

/*  grEndMfmaIndex:0, lwStartMfmaIndex:21, lwEndMfmaIndex:21  */
/*  numMfmaForLR:1, barrierMfmaIndex:22, LocalWritePerMfma:0.180 */
/*  mfmaIndex:18  */
/* localReadsVacancy: latencyLeft 13 */
s_waitcnt lgkmcnt(3)                               // lgkmcnt=0 vmcnt=-1wait for prior local read local write old=3, new=3 newLW=0 newLR=0
v_mfma_f32_32x32x2f32 a[0+0:15+0], v[vgprValuA_X6_I0+0+0+0], v[vgprValuB_X6_I0+0+0+0], a[0:15]
/*  mfmaIndex:19  */
/* localReadsVacancy: latencyLeft 13 */
v_mfma_f32_32x32x2f32 a[16+0:31+0], v[vgprValuA_X6_I0+1+0+0], v[vgprValuB_X6_I0+0+0+0], a[16:31]
/*  mfmaIndex:20  */
/* localReadsVacancy: latencyLeft 13 */
v_mfma_f32_32x32x2f32 a[32+0:47+0], v[vgprValuA_X6_I0+2+0+0], v[vgprValuB_X6_I0+0+0+0], a[32:47]
/* numPrefetchIter=0 */
/* dataAtIterA=5 numReadsIterA=7 skipReadsIterA=1 readsPerIterA=3 */
/* dataAtIterB=2 numReadsIterB=3 skipReadsIterB=0 readsPerIterB=1 */


/* iter 7 (last unrolled loop) */

/*  grEndMfmaIndex:0, lwStartMfmaIndex:21, lwEndMfmaIndex:21  */
/*  numMfmaForLR:1, barrierMfmaIndex:22, LocalWritePerMfma:0.180 */
/*  mfmaIndex:21  */
s_waitcnt lgkmcnt(0)                               // lgkmcnt=0 vmcnt=-1wait for prior local read local write old=0, new=0 newLW=0 newLR=0
v_mfma_f32_32x32x2f32 a[0+0:15+0], v[vgprValuA_X7_I0+0+0+0], v[vgprValuB_X6_I0+0+1+0], a[0:15]
/*  mfmaIndex:22  */
v_mfma_f32_32x32x2f32 a[16+0:31+0], v[vgprValuA_X7_I0+1+0+0], v[vgprValuB_X6_I0+0+1+0], a[16:31]
/*  mfmaIndex:23  */
v_mfma_f32_32x32x2f32 a[32+0:47+0], v[vgprValuA_X7_I0+2+0+0], v[vgprValuB_X6_I0+0+1+0], a[32:47]
/* numPrefetchIter=0 */
/* dataAtIterA=6 numReadsIterA=7 skipReadsIterA=0 readsPerIterA=3 */
/* dataAtIterB=2 numReadsIterB=3 skipReadsIterB=0 readsPerIterB=1 */

PrefetchGlobalLastIterEnd_5:


/******************************************/
/* Tail Loop                              */
/******************************************/


/* local write reset offsets a */

v_and_b32 v[vgprLocalWriteAddrA], 0xf07fff, v[vgprLocalWriteAddrA] // reset to Red


/* local write reset offsets b */

v_and_b32 v[vgprLocalWriteAddrB], 0xf07fff, v[vgprLocalWriteAddrB] // reset to Red


//numIterL = (((sizeL % LOCAL_DEPTHU) + LOCAL_SPLITU - 1) / LOCAL_SPLITU)
s_and_b32 s[sgprLoopCounterL], 15, s[sgprSizesSum+0] // s[sgprLoopCounterL] = s[sgprSizesSum+0] % 16
s_cmp_eq_u32 s[sgprLoopCounterL], 0x0              // numIterL == 0
s_cbranch_scc1 SkipTailLoopL_8                     // skip to end of tail loop b/c numIter==0
s_mov_b32 s[sgprOrigLoopCounter], 0                // repurpose to count each localRead increment


/* Update M0 for DTLDS */


	;; [unrolled: 1-line block ×3, first 2 shown]
/* global read a */

/* g2l=0, load component 0 */
_buffer_load_b32 v[vgprG2LA+0+0], v[vgprGlobalReadOffsetA+0], s[sgprSrdA:sgprSrdA+3], 0, offen offset:0 // load one buffer value
/* g2l=0, load component 1 */
_buffer_load_b32 v[vgprG2LA+0+1], v[vgprGlobalReadOffsetA+0], s[sgprSrdA:sgprSrdA+3], 0, offen offset:4 // load one buffer value
	;; [unrolled: 2-line block ×12, first 2 shown]


/* Update M0 for DTLDS */


	;; [unrolled: 1-line block ×3, first 2 shown]
/* global read b */

/* g2l=0, load component 0 */
_buffer_load_b32 v[vgprG2LB+0+0], v[vgprGlobalReadOffsetB+0], s[sgprSrdB:sgprSrdB+3], 0, offen offset:0 // load one buffer value
/* g2l=0, load component 1 */
_buffer_load_b32 v[vgprG2LB+0+1], v[vgprGlobalReadOffsetB+0], s[sgprSrdB:sgprSrdB+3], 0, offen offset:4 // load one buffer value
	;; [unrolled: 2-line block ×4, first 2 shown]

s_waitcnt vmcnt(0)                                 // lgkmcnt=-1 vmcnt=02wait for global read

// Skip force waitcnt0
s_barrier //


/* Done global A/B reads */


	;; [unrolled: 1-line block ×4, first 2 shown]
/* local write a */

_ds_store_b128 v[vgprLocalWriteAddrA], v[vgprG2LA+0:vgprG2LA+0+3] offset:0 // lwoA_0_0_0_0 = (0*LSCA) + (0*LSPA)(*MT0I+PAD) = 0
_ds_store_b128 v[vgprLocalWriteAddrA], v[vgprG2LA+4:vgprG2LA+4+3] offset:256 // lwoA_1_0_0_0 = (1*LSCA) + (0*LSPA)(*MT0I+PAD) = 256
_ds_store_b128 v[vgprLocalWriteAddrA], v[vgprG2LA+8:vgprG2LA+8+3] offset:512 // lwoA_2_0_0_0 = (2*LSCA) + (0*LSPA)(*MT0I+PAD) = 512


/* local write b */

_ds_store_b128 v[vgprLocalWriteAddrB], v[vgprG2LB+0:vgprG2LB+0+3] offset:0 // lwoB_0_0_0_0 = (0*LSCB)*(MT1J+PAD) + (0*LSPB) = 0


/* Recalc local read offsets */

/*lr0I*/
v_and_b32 v58, 63, v[vgprSerial]                   // 0. thread id in wave: wtid = tid % wavelength(64)
v_and_b32 v57, 31, v58                             // 1. N offset: nIdx = wtid % MI_N(32)
                                                   // 1. N offset: nOffset = nIdx * nStride(1) (multiplier is 1, do nothing)
                                                   // 2. block offset: bnIdx = bnIdx % num1DBlocks(1) is 0. do nothing
                                                   // 4. apply VectorWidth: bnOffset = bnOffset * vw(1) (multiplier is 1, do nothing)
v_lshrrev_b32 v58, 5, v58                          // 5. K offset: kIdx = wtid / (MIN(32) * MIBB(1))
s_mov_b32 s31, 0xc0                                // 5. K offset: lrKOffset = kIdx * mStride(192)
v_mul_lo_u32 v58, s31, v58                         // 5. K offset: lrKOffset = kIdx * mStride(192)
_v_add_u32 v57, v58, v57                           // 6. offset in wave: lrOffset = bnOffset + lrKOffset
v_lshrrev_b32 v59, 6, v[vgprSerial]                // 7. wave offset in N dimen: wtid = tid / dividedForWaveId(64)
v_and_b32 v58, 1, v59                              // 7. wave offset in M dimen: wtid0 = wtid / num1DWaves(2)
v_lshlrev_b32 v58, 0x5, v58                        // 7. wave offset in M dimen: wOffset = wtid0 * W0Stride(32)
_v_add_u32 v57, v58, v57                           // 8. final local read offset: flrOffset = lrOffset + WOffset
/*lr1J*/
v_and_b32 v59, 63, v[vgprSerial]                   // 0. thread id in wave: wtid = tid % wavelength(64)
v_and_b32 v58, 31, v59                             // 1. N offset: nIdx = wtid % MI_N(32)
v_lshlrev_b32 v58, 0x4, v58                        // 1. N offset: nOffset = nIdx * nStride(16)
                                                   // 2. block offset: bnIdx = bnIdx % num1DBlocks(1) is 0. do nothing
                                                   // 4. apply VectorWidth: bnOffset = bnOffset * vw(1) (multiplier is 1, do nothing)
v_lshrrev_b32 v59, 5, v59                          // 5. K offset: kIdx = wtid / (MIN(32) * MIBB(1))
                                                   // 5. K offset: lrKOffset = kIdx * mStride(1) (multiplier is 1, do nothing)
_v_add_u32 v58, v59, v58                           // 6. offset in wave: lrOffset = bnOffset + lrKOffset
v_lshrrev_b32 v60, 7, v[vgprSerial]                // 7. wave offset in N dimen: wtid = tid / dividedForWaveId(128)
v_and_b32 v59, 1, v60                              // 7. wave offset in M dimen: wtid0 = wtid / num1DWaves(2)
v_lshlrev_b32 v59, 0x9, v59                        // 7. wave offset in M dimen: wOffset = wtid0 * W0Stride(512)
_v_add_u32 v58, v59, v58                           // 8. final local read offset: flrOffset = lrOffset + WOffset
v_lshlrev_b32 v[vgprLocalReadAddrA], 0x2, v57      // Final Offset: offset = (lro0)*bpe
/* N/A */
v_lshlrev_b32 v[vgprLocalReadAddrB], 0x2, v58      // Final Offset: offset = (lro1)*bpe
v_lshrrev_b32 v57, 7, v[vgprLocalReadAddrB]        // Final Offset: padding 4 per block 128
v_lshlrev_b32 v57, 0x4, v57                        // Final Offset: padding 4 per block 128
_v_add_u32 v[vgprLocalReadAddrB], v57, v[vgprLocalReadAddrB] // Final Offset: add padding 4 per block 128
_v_add_co_u32 v[vgprLocalReadAddrB+0], vcc, 0x3000, v[vgprLocalReadAddrB+0] //  += LdsOffsetB (lower)

s_waitcnt lgkmcnt(0)                               // lgkmcnt=0 vmcnt=-15wait for local write

// Skip force waitcnt0
s_barrier //


/* local read reset offsets a */


/* localReadResetOffsets */
/* handled internally */
v_and_b32 v[vgprLocalReadAddrA], 0x7fff, v[vgprLocalReadAddrA] // reset Red,Blk -> Red


/* local read reset offsets b */


/* localReadResetOffsets */
/* handled internally */
v_and_b32 v[vgprLocalReadAddrB], 0x7fff, v[vgprLocalReadAddrB] // reset Red,Blk -> Red


/* local read init pointers a */


/* localReadInitPointers */


/* local read init pointers b */


/* localReadInitPointers */


/* tail loop: macs */

TailLoopBeginL_6:


/* tail loop unroll iter 0 */


/* local read a */

_ds_load_b32 v[vgprValuA_X0_I0+0], v[vgprLocalReadAddrA] offset:0 // L -> Reg lro=0 swapByteOffset=0 ti=64 vIdx=0 rIdx=0 oIdx=0 buffer=0 iui=0
_ds_load_b32 v[vgprValuA_X0_I0+1], v[vgprLocalReadAddrA] offset:256 // L -> Reg lro=0 swapByteOffset=0 ti=64 vIdx=1 rIdx=0 oIdx=0 buffer=0 iui=0
	;; [unrolled: 1-line block ×3, first 2 shown]


/* local read b */

_ds_load_b32 v[vgprValuB_X0_I0+0], v[vgprLocalReadAddrB] offset:0 // L -> Reg lro=0 swapByteOffset=0 ti=64 vIdx=0 rIdx=0 oIdx=0 buffer=0 iui=0


/* local read inc a */

s_mov_b32 s31, 0x600                               // inc
_v_add_co_u32 v[vgprLocalReadAddrA], vcc, s31, v[vgprLocalReadAddrA] // lrA += 1536 (LSU*(MT+PAD)*bpe)


/* local read inc b */

s_mov_b32 s31, 0x8                                 // inc
_v_add_co_u32 v[vgprLocalReadAddrB], vcc, s31, v[vgprLocalReadAddrB] // lrB += 8 (LSU*bpe)

s_waitcnt lgkmcnt(0)                               // lgkmcnt=0 vmcnt=-14wait for local read


	;; [unrolled: 1-line block ×3, first 2 shown]
/* tail loop mfma iter 0: numReadsIterCoalescedA=1, numReadsIterCoalescedB=1 */
v_and_b32 v57, 63, v[vgprSerial]                   // v57 = v[vgprSerial] % 64
v_lshrrev_b32 v57, 5, v57                          // v57 = v57 / 32
                                                   // v57 = v57 * 1 (multiplier is 1, do nothing)
v_cmp_ge_i32 s[32:33], v57, s[sgprLoopCounterL]    // check K index >= Size L
v_cndmask_b32 v[vgprValuB_X0_I0+0+0+0+0], v[vgprValuB_X0_I0+0+0+0+0], 0x0, s[32:33] // set 0 if K_idx >= sizeL
s_nop 1
v_mfma_f32_32x32x2f32 a[0+0:15+0], v[vgprValuA_X0_I0+0+0+0], v[vgprValuB_X0_I0+0+0+0], a[0:15]
v_mfma_f32_32x32x2f32 a[16+0:31+0], v[vgprValuA_X0_I0+1+0+0], v[vgprValuB_X0_I0+0+0+0], a[16:31]
	;; [unrolled: 1-line block ×3, first 2 shown]


/* closeLoop loopL finalLoop=0 tailLoop=1 */
s_sub_i32 s[sgprLoopCounterL], s[sgprLoopCounterL], 0x2 // dec counterL (tailLoop)
s_add_u32 s[sgprOrigLoopCounter], s[sgprOrigLoopCounter], 0x2 // inc counterL
s_cmp_le_i32 s[sgprLoopCounterL], 0x0              // counterL<=0
s_cbranch_scc1 TailLoopEndL_7                      // exit LoopL


/* tail loop unroll iter 1 */


/* local read a */

_ds_load_b32 v[vgprValuA_X1_I0+0], v[vgprLocalReadAddrA] offset:0 // L -> Reg lro=0 swapByteOffset=0 ti=64 vIdx=0 rIdx=0 oIdx=0 buffer=1 iui=0
_ds_load_b32 v[vgprValuA_X1_I0+1], v[vgprLocalReadAddrA] offset:256 // L -> Reg lro=0 swapByteOffset=0 ti=64 vIdx=1 rIdx=0 oIdx=0 buffer=1 iui=0
	;; [unrolled: 1-line block ×3, first 2 shown]


/* local read b */

_ds_load_b32 v[vgprValuB_X1_I0+0], v[vgprLocalReadAddrB] offset:0 // L -> Reg lro=0 swapByteOffset=0 ti=64 vIdx=0 rIdx=0 oIdx=0 buffer=1 iui=0


/* local read inc a */

s_mov_b32 s31, 0x600                               // inc
_v_add_co_u32 v[vgprLocalReadAddrA], vcc, s31, v[vgprLocalReadAddrA] // lrA += 1536 (LSU*(MT+PAD)*bpe)


/* local read inc b */

s_mov_b32 s31, 0x8                                 // inc
_v_add_co_u32 v[vgprLocalReadAddrB], vcc, s31, v[vgprLocalReadAddrB] // lrB += 8 (LSU*bpe)

s_waitcnt lgkmcnt(0)                               // lgkmcnt=0 vmcnt=-14wait for local read


	;; [unrolled: 1-line block ×3, first 2 shown]
/* tail loop mfma iter 1: numReadsIterCoalescedA=1, numReadsIterCoalescedB=1 */
v_and_b32 v57, 63, v[vgprSerial]                   // v57 = v[vgprSerial] % 64
v_lshrrev_b32 v57, 5, v57                          // v57 = v57 / 32
                                                   // v57 = v57 * 1 (multiplier is 1, do nothing)
v_cmp_ge_i32 s[32:33], v57, s[sgprLoopCounterL]    // check K index >= Size L
v_cndmask_b32 v[vgprValuB_X1_I0+0+0+0+0], v[vgprValuB_X1_I0+0+0+0+0], 0x0, s[32:33] // set 0 if K_idx >= sizeL
s_nop 1
v_mfma_f32_32x32x2f32 a[0+0:15+0], v[vgprValuA_X1_I0+0+0+0], v[vgprValuB_X1_I0+0+0+0], a[0:15]
v_mfma_f32_32x32x2f32 a[16+0:31+0], v[vgprValuA_X1_I0+1+0+0], v[vgprValuB_X1_I0+0+0+0], a[16:31]
	;; [unrolled: 1-line block ×3, first 2 shown]


/* closeLoop loopL finalLoop=0 tailLoop=1 */
s_sub_i32 s[sgprLoopCounterL], s[sgprLoopCounterL], 0x2 // dec counterL (tailLoop)
s_add_u32 s[sgprOrigLoopCounter], s[sgprOrigLoopCounter], 0x2 // inc counterL
s_cmp_le_i32 s[sgprLoopCounterL], 0x0              // counterL<=0
s_cbranch_scc1 TailLoopEndL_7                      // exit LoopL


/* tail loop unroll iter 2 */


/* local read a */

_ds_load_b32 v[vgprValuA_X2_I0+0], v[vgprLocalReadAddrA] offset:0 // L -> Reg lro=0 swapByteOffset=0 ti=64 vIdx=0 rIdx=0 oIdx=0 buffer=2 iui=0
_ds_load_b32 v[vgprValuA_X2_I0+1], v[vgprLocalReadAddrA] offset:256 // L -> Reg lro=0 swapByteOffset=0 ti=64 vIdx=1 rIdx=0 oIdx=0 buffer=2 iui=0
	;; [unrolled: 1-line block ×3, first 2 shown]


/* local read b */

_ds_load_b32 v[vgprValuB_X2_I0+0], v[vgprLocalReadAddrB] offset:0 // L -> Reg lro=0 swapByteOffset=0 ti=64 vIdx=0 rIdx=0 oIdx=0 buffer=2 iui=0


/* local read inc a */

s_mov_b32 s31, 0x600                               // inc
_v_add_co_u32 v[vgprLocalReadAddrA], vcc, s31, v[vgprLocalReadAddrA] // lrA += 1536 (LSU*(MT+PAD)*bpe)


/* local read inc b */

s_mov_b32 s31, 0x8                                 // inc
_v_add_co_u32 v[vgprLocalReadAddrB], vcc, s31, v[vgprLocalReadAddrB] // lrB += 8 (LSU*bpe)

s_waitcnt lgkmcnt(0)                               // lgkmcnt=0 vmcnt=-14wait for local read


	;; [unrolled: 1-line block ×3, first 2 shown]
/* tail loop mfma iter 2: numReadsIterCoalescedA=1, numReadsIterCoalescedB=1 */
v_and_b32 v57, 63, v[vgprSerial]                   // v57 = v[vgprSerial] % 64
v_lshrrev_b32 v57, 5, v57                          // v57 = v57 / 32
                                                   // v57 = v57 * 1 (multiplier is 1, do nothing)
v_cmp_ge_i32 s[32:33], v57, s[sgprLoopCounterL]    // check K index >= Size L
v_cndmask_b32 v[vgprValuB_X2_I0+0+0+0+0], v[vgprValuB_X2_I0+0+0+0+0], 0x0, s[32:33] // set 0 if K_idx >= sizeL
s_nop 1
v_mfma_f32_32x32x2f32 a[0+0:15+0], v[vgprValuA_X2_I0+0+0+0], v[vgprValuB_X2_I0+0+0+0], a[0:15]
v_mfma_f32_32x32x2f32 a[16+0:31+0], v[vgprValuA_X2_I0+1+0+0], v[vgprValuB_X2_I0+0+0+0], a[16:31]
	;; [unrolled: 1-line block ×3, first 2 shown]


/* closeLoop loopL finalLoop=0 tailLoop=1 */
s_sub_i32 s[sgprLoopCounterL], s[sgprLoopCounterL], 0x2 // dec counterL (tailLoop)
s_add_u32 s[sgprOrigLoopCounter], s[sgprOrigLoopCounter], 0x2 // inc counterL
s_cmp_le_i32 s[sgprLoopCounterL], 0x0              // counterL<=0
s_cbranch_scc1 TailLoopEndL_7                      // exit LoopL


/* tail loop unroll iter 3 */


/* local read a */

_ds_load_b32 v[vgprValuA_X3_I0+0], v[vgprLocalReadAddrA] offset:0 // L -> Reg lro=0 swapByteOffset=0 ti=64 vIdx=0 rIdx=0 oIdx=0 buffer=3 iui=0
_ds_load_b32 v[vgprValuA_X3_I0+1], v[vgprLocalReadAddrA] offset:256 // L -> Reg lro=0 swapByteOffset=0 ti=64 vIdx=1 rIdx=0 oIdx=0 buffer=3 iui=0
	;; [unrolled: 1-line block ×3, first 2 shown]


/* local read b */

_ds_load_b32 v[vgprValuB_X3_I0+0], v[vgprLocalReadAddrB] offset:0 // L -> Reg lro=0 swapByteOffset=0 ti=64 vIdx=0 rIdx=0 oIdx=0 buffer=3 iui=0


/* local read inc a */

s_mov_b32 s31, 0x600                               // inc
_v_add_co_u32 v[vgprLocalReadAddrA], vcc, s31, v[vgprLocalReadAddrA] // lrA += 1536 (LSU*(MT+PAD)*bpe)


/* local read inc b */

s_mov_b32 s31, 0x8                                 // inc
_v_add_co_u32 v[vgprLocalReadAddrB], vcc, s31, v[vgprLocalReadAddrB] // lrB += 8 (LSU*bpe)

s_waitcnt lgkmcnt(0)                               // lgkmcnt=0 vmcnt=-14wait for local read


	;; [unrolled: 1-line block ×3, first 2 shown]
/* tail loop mfma iter 3: numReadsIterCoalescedA=1, numReadsIterCoalescedB=1 */
v_and_b32 v57, 63, v[vgprSerial]                   // v57 = v[vgprSerial] % 64
v_lshrrev_b32 v57, 5, v57                          // v57 = v57 / 32
                                                   // v57 = v57 * 1 (multiplier is 1, do nothing)
v_cmp_ge_i32 s[32:33], v57, s[sgprLoopCounterL]    // check K index >= Size L
v_cndmask_b32 v[vgprValuB_X3_I0+0+0+0+0], v[vgprValuB_X3_I0+0+0+0+0], 0x0, s[32:33] // set 0 if K_idx >= sizeL
s_nop 1
v_mfma_f32_32x32x2f32 a[0+0:15+0], v[vgprValuA_X3_I0+0+0+0], v[vgprValuB_X3_I0+0+0+0], a[0:15]
v_mfma_f32_32x32x2f32 a[16+0:31+0], v[vgprValuA_X3_I0+1+0+0], v[vgprValuB_X3_I0+0+0+0], a[16:31]
	;; [unrolled: 1-line block ×3, first 2 shown]


/* closeLoop loopL finalLoop=0 tailLoop=1 */
s_sub_i32 s[sgprLoopCounterL], s[sgprLoopCounterL], 0x2 // dec counterL (tailLoop)
s_add_u32 s[sgprOrigLoopCounter], s[sgprOrigLoopCounter], 0x2 // inc counterL
s_cmp_le_i32 s[sgprLoopCounterL], 0x0              // counterL<=0
s_cbranch_scc1 TailLoopEndL_7                      // exit LoopL


/* tail loop unroll iter 4 */


/* local read a */

_ds_load_b32 v[vgprValuA_X4_I0+0], v[vgprLocalReadAddrA] offset:0 // L -> Reg lro=0 swapByteOffset=0 ti=64 vIdx=0 rIdx=0 oIdx=0 buffer=4 iui=0
_ds_load_b32 v[vgprValuA_X4_I0+1], v[vgprLocalReadAddrA] offset:256 // L -> Reg lro=0 swapByteOffset=0 ti=64 vIdx=1 rIdx=0 oIdx=0 buffer=4 iui=0
	;; [unrolled: 1-line block ×3, first 2 shown]


/* local read b */

_ds_load_b32 v[vgprValuB_X4_I0+0], v[vgprLocalReadAddrB] offset:0 // L -> Reg lro=0 swapByteOffset=0 ti=64 vIdx=0 rIdx=0 oIdx=0 buffer=4 iui=0


/* local read inc a */

s_mov_b32 s31, 0x600                               // inc
_v_add_co_u32 v[vgprLocalReadAddrA], vcc, s31, v[vgprLocalReadAddrA] // lrA += 1536 (LSU*(MT+PAD)*bpe)


/* local read inc b */

s_mov_b32 s31, 0x8                                 // inc
_v_add_co_u32 v[vgprLocalReadAddrB], vcc, s31, v[vgprLocalReadAddrB] // lrB += 8 (LSU*bpe)

s_waitcnt lgkmcnt(0)                               // lgkmcnt=0 vmcnt=-14wait for local read


	;; [unrolled: 1-line block ×3, first 2 shown]
/* tail loop mfma iter 4: numReadsIterCoalescedA=1, numReadsIterCoalescedB=1 */
v_and_b32 v57, 63, v[vgprSerial]                   // v57 = v[vgprSerial] % 64
v_lshrrev_b32 v57, 5, v57                          // v57 = v57 / 32
                                                   // v57 = v57 * 1 (multiplier is 1, do nothing)
v_cmp_ge_i32 s[32:33], v57, s[sgprLoopCounterL]    // check K index >= Size L
v_cndmask_b32 v[vgprValuB_X4_I0+0+0+0+0], v[vgprValuB_X4_I0+0+0+0+0], 0x0, s[32:33] // set 0 if K_idx >= sizeL
s_nop 1
v_mfma_f32_32x32x2f32 a[0+0:15+0], v[vgprValuA_X4_I0+0+0+0], v[vgprValuB_X4_I0+0+0+0], a[0:15]
v_mfma_f32_32x32x2f32 a[16+0:31+0], v[vgprValuA_X4_I0+1+0+0], v[vgprValuB_X4_I0+0+0+0], a[16:31]
	;; [unrolled: 1-line block ×3, first 2 shown]


/* closeLoop loopL finalLoop=0 tailLoop=1 */
s_sub_i32 s[sgprLoopCounterL], s[sgprLoopCounterL], 0x2 // dec counterL (tailLoop)
s_add_u32 s[sgprOrigLoopCounter], s[sgprOrigLoopCounter], 0x2 // inc counterL
s_cmp_le_i32 s[sgprLoopCounterL], 0x0              // counterL<=0
s_cbranch_scc1 TailLoopEndL_7                      // exit LoopL


/* tail loop unroll iter 5 */


/* local read a */

_ds_load_b32 v[vgprValuA_X5_I0+0], v[vgprLocalReadAddrA] offset:0 // L -> Reg lro=0 swapByteOffset=0 ti=64 vIdx=0 rIdx=0 oIdx=0 buffer=5 iui=0
_ds_load_b32 v[vgprValuA_X5_I0+1], v[vgprLocalReadAddrA] offset:256 // L -> Reg lro=0 swapByteOffset=0 ti=64 vIdx=1 rIdx=0 oIdx=0 buffer=5 iui=0
	;; [unrolled: 1-line block ×3, first 2 shown]


/* local read b */

_ds_load_b32 v[vgprValuB_X5_I0+0], v[vgprLocalReadAddrB] offset:0 // L -> Reg lro=0 swapByteOffset=0 ti=64 vIdx=0 rIdx=0 oIdx=0 buffer=5 iui=0


/* local read inc a */

s_mov_b32 s31, 0x600                               // inc
_v_add_co_u32 v[vgprLocalReadAddrA], vcc, s31, v[vgprLocalReadAddrA] // lrA += 1536 (LSU*(MT+PAD)*bpe)


/* local read inc b */

s_mov_b32 s31, 0x8                                 // inc
_v_add_co_u32 v[vgprLocalReadAddrB], vcc, s31, v[vgprLocalReadAddrB] // lrB += 8 (LSU*bpe)

s_waitcnt lgkmcnt(0)                               // lgkmcnt=0 vmcnt=-14wait for local read


	;; [unrolled: 1-line block ×3, first 2 shown]
/* tail loop mfma iter 5: numReadsIterCoalescedA=1, numReadsIterCoalescedB=1 */
v_and_b32 v57, 63, v[vgprSerial]                   // v57 = v[vgprSerial] % 64
v_lshrrev_b32 v57, 5, v57                          // v57 = v57 / 32
                                                   // v57 = v57 * 1 (multiplier is 1, do nothing)
v_cmp_ge_i32 s[32:33], v57, s[sgprLoopCounterL]    // check K index >= Size L
v_cndmask_b32 v[vgprValuB_X5_I0+0+0+0+0], v[vgprValuB_X5_I0+0+0+0+0], 0x0, s[32:33] // set 0 if K_idx >= sizeL
s_nop 1
v_mfma_f32_32x32x2f32 a[0+0:15+0], v[vgprValuA_X5_I0+0+0+0], v[vgprValuB_X5_I0+0+0+0], a[0:15]
v_mfma_f32_32x32x2f32 a[16+0:31+0], v[vgprValuA_X5_I0+1+0+0], v[vgprValuB_X5_I0+0+0+0], a[16:31]
	;; [unrolled: 1-line block ×3, first 2 shown]


/* closeLoop loopL finalLoop=0 tailLoop=1 */
s_sub_i32 s[sgprLoopCounterL], s[sgprLoopCounterL], 0x2 // dec counterL (tailLoop)
s_add_u32 s[sgprOrigLoopCounter], s[sgprOrigLoopCounter], 0x2 // inc counterL
s_cmp_le_i32 s[sgprLoopCounterL], 0x0              // counterL<=0
s_cbranch_scc1 TailLoopEndL_7                      // exit LoopL


/* tail loop unroll iter 6 */


/* local read a */

_ds_load_b32 v[vgprValuA_X6_I0+0], v[vgprLocalReadAddrA] offset:0 // L -> Reg lro=0 swapByteOffset=0 ti=64 vIdx=0 rIdx=0 oIdx=0 buffer=6 iui=0
_ds_load_b32 v[vgprValuA_X6_I0+1], v[vgprLocalReadAddrA] offset:256 // L -> Reg lro=0 swapByteOffset=0 ti=64 vIdx=1 rIdx=0 oIdx=0 buffer=6 iui=0
	;; [unrolled: 1-line block ×3, first 2 shown]


/* local read b */

_ds_load_b32 v[vgprValuB_X6_I0+0], v[vgprLocalReadAddrB] offset:0 // L -> Reg lro=0 swapByteOffset=0 ti=64 vIdx=0 rIdx=0 oIdx=0 buffer=6 iui=0


/* local read inc a */

s_mov_b32 s31, 0x600                               // inc
_v_add_co_u32 v[vgprLocalReadAddrA], vcc, s31, v[vgprLocalReadAddrA] // lrA += 1536 (LSU*(MT+PAD)*bpe)


/* local read inc b */

s_mov_b32 s31, 0x8                                 // inc
_v_add_co_u32 v[vgprLocalReadAddrB], vcc, s31, v[vgprLocalReadAddrB] // lrB += 8 (LSU*bpe)

s_waitcnt lgkmcnt(0)                               // lgkmcnt=0 vmcnt=-14wait for local read


	;; [unrolled: 1-line block ×3, first 2 shown]
/* tail loop mfma iter 6: numReadsIterCoalescedA=1, numReadsIterCoalescedB=1 */
v_and_b32 v57, 63, v[vgprSerial]                   // v57 = v[vgprSerial] % 64
v_lshrrev_b32 v57, 5, v57                          // v57 = v57 / 32
                                                   // v57 = v57 * 1 (multiplier is 1, do nothing)
v_cmp_ge_i32 s[32:33], v57, s[sgprLoopCounterL]    // check K index >= Size L
v_cndmask_b32 v[vgprValuB_X6_I0+0+0+0+0], v[vgprValuB_X6_I0+0+0+0+0], 0x0, s[32:33] // set 0 if K_idx >= sizeL
s_nop 1
v_mfma_f32_32x32x2f32 a[0+0:15+0], v[vgprValuA_X6_I0+0+0+0], v[vgprValuB_X6_I0+0+0+0], a[0:15]
v_mfma_f32_32x32x2f32 a[16+0:31+0], v[vgprValuA_X6_I0+1+0+0], v[vgprValuB_X6_I0+0+0+0], a[16:31]
	;; [unrolled: 1-line block ×3, first 2 shown]


/* closeLoop loopL finalLoop=0 tailLoop=1 */
s_sub_i32 s[sgprLoopCounterL], s[sgprLoopCounterL], 0x2 // dec counterL (tailLoop)
s_add_u32 s[sgprOrigLoopCounter], s[sgprOrigLoopCounter], 0x2 // inc counterL
s_cmp_le_i32 s[sgprLoopCounterL], 0x0              // counterL<=0
s_cbranch_scc1 TailLoopEndL_7                      // exit LoopL


/* tail loop unroll iter 7 */


/* local read a */

_ds_load_b32 v[vgprValuA_X7_I0+0], v[vgprLocalReadAddrA] offset:0 // L -> Reg lro=0 swapByteOffset=0 ti=64 vIdx=0 rIdx=0 oIdx=0 buffer=7 iui=0
_ds_load_b32 v[vgprValuA_X7_I0+1], v[vgprLocalReadAddrA] offset:256 // L -> Reg lro=0 swapByteOffset=0 ti=64 vIdx=1 rIdx=0 oIdx=0 buffer=7 iui=0
	;; [unrolled: 1-line block ×3, first 2 shown]


/* local read b */

_ds_load_b32 v[vgprValuB_X7_I0+0], v[vgprLocalReadAddrB] offset:0 // L -> Reg lro=0 swapByteOffset=0 ti=64 vIdx=0 rIdx=0 oIdx=0 buffer=7 iui=0


/* local read inc a */

s_mov_b32 s31, 0x600                               // inc
_v_add_co_u32 v[vgprLocalReadAddrA], vcc, s31, v[vgprLocalReadAddrA] // lrA += 1536 (LSU*(MT+PAD)*bpe)


/* local read inc b */

s_mov_b32 s31, 0x8                                 // inc
_v_add_co_u32 v[vgprLocalReadAddrB], vcc, s31, v[vgprLocalReadAddrB] // lrB += 8 (LSU*bpe)

s_waitcnt lgkmcnt(0)                               // lgkmcnt=0 vmcnt=-14wait for local read


	;; [unrolled: 1-line block ×3, first 2 shown]
/* tail loop mfma iter 7: numReadsIterCoalescedA=1, numReadsIterCoalescedB=1 */
v_and_b32 v57, 63, v[vgprSerial]                   // v57 = v[vgprSerial] % 64
v_lshrrev_b32 v57, 5, v57                          // v57 = v57 / 32
                                                   // v57 = v57 * 1 (multiplier is 1, do nothing)
v_cmp_ge_i32 s[32:33], v57, s[sgprLoopCounterL]    // check K index >= Size L
v_cndmask_b32 v[vgprValuB_X7_I0+0+0+0+0], v[vgprValuB_X7_I0+0+0+0+0], 0x0, s[32:33] // set 0 if K_idx >= sizeL
s_nop 1
v_mfma_f32_32x32x2f32 a[0+0:15+0], v[vgprValuA_X7_I0+0+0+0], v[vgprValuB_X7_I0+0+0+0], a[0:15]
v_mfma_f32_32x32x2f32 a[16+0:31+0], v[vgprValuA_X7_I0+1+0+0], v[vgprValuB_X7_I0+0+0+0], a[16:31]
	;; [unrolled: 1-line block ×3, first 2 shown]


/* closeLoop loopL finalLoop=1 tailLoop=1 */
s_sub_i32 s[sgprLoopCounterL], s[sgprLoopCounterL], 0x2 // dec counterL (tailLoop)
s_add_u32 s[sgprOrigLoopCounter], s[sgprOrigLoopCounter], 0x2 // inc counterL
s_cmp_le_i32 s[sgprLoopCounterL], 0x0              // counterL<=0
s_cbranch_scc0 TailLoopBeginL_6                    // restart LoopL
TailLoopEndL_7:

SkipTailLoopL_8:

Summation_End_29:
/* endSummation: add vgpr [0...54) to pool */

/* Mapping of Acc register -> C Vgpr register */


/* shift vector components d0 */

v_mov_b32 v1, s[sgprWorkGroup0]                    // 
v_mul_i32_i24 v1, -0xc0, v1                        // wg*MT
_v_add_co_u32 v1, vcc, s[sgprSizesFree+0], v1      // wgMT = Size - wg*MT
v_mov_b32 v2, 0xc0                                 // MT
v_min_u32 v1, v2, v1                               // wgMT = (wgMT < MT) ? wgMT : MT
v_lshrrev_b32 v0, 6, v[vgprSerial]                 // v0 = v[vgprSerial] / 64
v_and_b32 v3, 1, v0                                // v3 = v0 % 2
v_lshrrev_b32 v0, 5, v1                            // v0 = v1 / 32
v_and_b32 v4, 1, v0                                // v4 = v0 % 2
v_cmp_eq_u32 s[32:33], v4, v3                      // wave_id == block_belong_to_wave?
v_cndmask_b32 v1, v2, v1, s[32:33]                 // wgMT = (wgMT < MT) ? wgMT : MT

/* mbReg: which mb block need to shift, mb(matrixInstCoal(32) * VectorWidth(1)) */
v_lshrrev_b32 v2, 3, v1                            // v2 = v1 / 8
v_lshlrev_b32 v4, 0x2, v3                          // v4 = v3 * 4
_v_sub_u32 v2, v2, v4                              // 

/* gbReg: glvw block id */
v_lshrrev_b32 v4, 2, v1                            // v4 = v1 / 4

/* tgbReg: glvw block id */
v_lshrrev_b32 v0, 5, v[vgprSerial]                 // v0 = v[vgprSerial] / 32
v_and_b32 v5, 1, v0                                // v5 = v0 % 2
v_lshlrev_b32 v5, 0x2, v5                          // v5 = v5 * 4
v_lshrrev_b32 v5, 2, v5                            // v5 = v5 / 4
v_lshlrev_b32 v3, 0x3, v3                          // v3 = v3 * 8
_v_add_co_u32 v5, vcc, v3, v5                      // tgbReg = (tid_coal * continOut) / GLVW
_v_sub_u32 v4, v4, v5                              // 

/* vwReg: glvw in which vw block? */
v_and_b32 v3, 3, v1                                // permute register between threads
v_lshrrev_b32 v3, 2, v3                            // permute register between threads

/* rReg : reminder of M_size % GlobalLoadVectorWidth */
v_and_b32 v5, 3, v1                                // v5 = v1 % 4
v_cmp_eq_u32 vcc, v5, 0x1                          // wgMT%VW == 1
s_cbranch_vccnz label_0030                         // branch to shift d0 r=1
v_cmp_eq_u32 vcc, v5, 0x2                          // wgMT%VW == 2
s_cbranch_vccnz label_0055                         // branch to shift d0 r=2
v_cmp_eq_u32 vcc, v5, 0x3                          // wgMT%VW == 3
s_cbranch_vccnz label_0080                         // branch to shift d0 r=3
s_branch label_0105                                // no shifting

/******************************************/
/* shift d0 r=1                           */
/******************************************/
label_0030:
v_cmp_eq_u32 vcc, v2, 0x0                          // 
s_cbranch_vccnz label_0031                         // branch to shift d0 r1 mb0
v_cmp_eq_u32 vcc, v2, 0x1                          // 
s_cbranch_vccnz label_0033                         // branch to shift d0 r1 mb1
v_cmp_eq_u32 vcc, v2, 0x2                          // 
s_cbranch_vccnz label_0035                         // branch to shift d0 r1 mb2
v_cmp_eq_u32 vcc, v2, 0x3                          // 
s_cbranch_vccnz label_0037                         // branch to shift d0 r1 mb3
v_cmp_eq_u32 vcc, v2, 0x8                          // 
s_cbranch_vccnz label_0039                         // branch to shift d0 r1 mb4
v_cmp_eq_u32 vcc, v2, 0x9                          // 
s_cbranch_vccnz label_0041                         // branch to shift d0 r1 mb5
v_cmp_eq_u32 vcc, v2, 0xa                          // 
s_cbranch_vccnz label_0043                         // branch to shift d0 r1 mb6
v_cmp_eq_u32 vcc, v2, 0xb                          // 
s_cbranch_vccnz label_0045                         // branch to shift d0 r1 mb7
v_cmp_eq_u32 vcc, v2, 0x10                         // 
s_cbranch_vccnz label_0047                         // branch to shift d0 r1 mb8
v_cmp_eq_u32 vcc, v2, 0x11                         // 
s_cbranch_vccnz label_0049                         // branch to shift d0 r1 mb9
v_cmp_eq_u32 vcc, v2, 0x12                         // 
s_cbranch_vccnz label_0051                         // branch to shift d0 r1 mb10
v_cmp_eq_u32 vcc, v2, 0x13                         // 
s_cbranch_vccnz label_0053                         // branch to shift d0 r1 mb11

/******************************************/
/* shift d0 r=2                           */
/******************************************/
label_0055:
v_cmp_eq_u32 vcc, v2, 0x0                          // 
s_cbranch_vccnz label_0056                         // branch to shift d0 r2 mb0
v_cmp_eq_u32 vcc, v2, 0x1                          // 
s_cbranch_vccnz label_0058                         // branch to shift d0 r2 mb1
v_cmp_eq_u32 vcc, v2, 0x2                          // 
s_cbranch_vccnz label_0060                         // branch to shift d0 r2 mb2
v_cmp_eq_u32 vcc, v2, 0x3                          // 
s_cbranch_vccnz label_0062                         // branch to shift d0 r2 mb3
v_cmp_eq_u32 vcc, v2, 0x8                          // 
s_cbranch_vccnz label_0064                         // branch to shift d0 r2 mb4
v_cmp_eq_u32 vcc, v2, 0x9                          // 
s_cbranch_vccnz label_0066                         // branch to shift d0 r2 mb5
v_cmp_eq_u32 vcc, v2, 0xa                          // 
s_cbranch_vccnz label_0068                         // branch to shift d0 r2 mb6
v_cmp_eq_u32 vcc, v2, 0xb                          // 
s_cbranch_vccnz label_0070                         // branch to shift d0 r2 mb7
v_cmp_eq_u32 vcc, v2, 0x10                         // 
s_cbranch_vccnz label_0072                         // branch to shift d0 r2 mb8
v_cmp_eq_u32 vcc, v2, 0x11                         // 
s_cbranch_vccnz label_0074                         // branch to shift d0 r2 mb9
v_cmp_eq_u32 vcc, v2, 0x12                         // 
s_cbranch_vccnz label_0076                         // branch to shift d0 r2 mb10
v_cmp_eq_u32 vcc, v2, 0x13                         // 
s_cbranch_vccnz label_0078                         // branch to shift d0 r2 mb11

/******************************************/
/* shift d0 r=3                           */
/******************************************/
label_0080:
v_cmp_eq_u32 vcc, v2, 0x0                          // 
s_cbranch_vccnz label_0081                         // branch to shift d0 r3 mb0
v_cmp_eq_u32 vcc, v2, 0x1                          // 
s_cbranch_vccnz label_0083                         // branch to shift d0 r3 mb1
v_cmp_eq_u32 vcc, v2, 0x2                          // 
s_cbranch_vccnz label_0085                         // branch to shift d0 r3 mb2
v_cmp_eq_u32 vcc, v2, 0x3                          // 
s_cbranch_vccnz label_0087                         // branch to shift d0 r3 mb3
v_cmp_eq_u32 vcc, v2, 0x8                          // 
s_cbranch_vccnz label_0089                         // branch to shift d0 r3 mb4
v_cmp_eq_u32 vcc, v2, 0x9                          // 
s_cbranch_vccnz label_0091                         // branch to shift d0 r3 mb5
v_cmp_eq_u32 vcc, v2, 0xa                          // 
s_cbranch_vccnz label_0093                         // branch to shift d0 r3 mb6
v_cmp_eq_u32 vcc, v2, 0xb                          // 
s_cbranch_vccnz label_0095                         // branch to shift d0 r3 mb7
v_cmp_eq_u32 vcc, v2, 0x10                         // 
s_cbranch_vccnz label_0097                         // branch to shift d0 r3 mb8
v_cmp_eq_u32 vcc, v2, 0x11                         // 
s_cbranch_vccnz label_0099                         // branch to shift d0 r3 mb9
v_cmp_eq_u32 vcc, v2, 0x12                         // 
s_cbranch_vccnz label_0101                         // branch to shift d0 r3 mb10
v_cmp_eq_u32 vcc, v2, 0x13                         // 
s_cbranch_vccnz label_0103                         // branch to shift d0 r3 mb11

/******************************************/
/* shift d0 r=1 mb=0                      */
/******************************************/
label_0031: // r1 mb0 
v_cmp_eq_u32 vcc, v3, 0x0                          // 
s_cbranch_vccnz label_0032                         // branch to shift d0 r1 mb0 vw0

/******************************************/
/* shift d0 r=1 mb=1                      */
/******************************************/
label_0033: // r1 mb1 
v_cmp_eq_u32 vcc, v3, 0x0                          // 
s_cbranch_vccnz label_0034                         // branch to shift d0 r1 mb1 vw0

/******************************************/
/* shift d0 r=1 mb=2                      */
/******************************************/
label_0035: // r1 mb2 
v_cmp_eq_u32 vcc, v3, 0x0                          // 
s_cbranch_vccnz label_0036                         // branch to shift d0 r1 mb2 vw0

/******************************************/
/* shift d0 r=1 mb=3                      */
/******************************************/
label_0037: // r1 mb3 
v_cmp_eq_u32 vcc, v3, 0x0                          // 
s_cbranch_vccnz label_0038                         // branch to shift d0 r1 mb3 vw0

/******************************************/
/* shift d0 r=1 mb=4                      */
/******************************************/
label_0039: // r1 mb4 
v_cmp_eq_u32 vcc, v3, 0x0                          // 
s_cbranch_vccnz label_0040                         // branch to shift d0 r1 mb4 vw0

/******************************************/
/* shift d0 r=1 mb=5                      */
/******************************************/
label_0041: // r1 mb5 
v_cmp_eq_u32 vcc, v3, 0x0                          // 
s_cbranch_vccnz label_0042                         // branch to shift d0 r1 mb5 vw0

/******************************************/
/* shift d0 r=1 mb=6                      */
/******************************************/
label_0043: // r1 mb6 
v_cmp_eq_u32 vcc, v3, 0x0                          // 
s_cbranch_vccnz label_0044                         // branch to shift d0 r1 mb6 vw0

/******************************************/
/* shift d0 r=1 mb=7                      */
/******************************************/
label_0045: // r1 mb7 
v_cmp_eq_u32 vcc, v3, 0x0                          // 
s_cbranch_vccnz label_0046                         // branch to shift d0 r1 mb7 vw0

/******************************************/
/* shift d0 r=1 mb=8                      */
/******************************************/
label_0047: // r1 mb8 
v_cmp_eq_u32 vcc, v3, 0x0                          // 
s_cbranch_vccnz label_0048                         // branch to shift d0 r1 mb8 vw0

/******************************************/
/* shift d0 r=1 mb=9                      */
/******************************************/
label_0049: // r1 mb9 
v_cmp_eq_u32 vcc, v3, 0x0                          // 
s_cbranch_vccnz label_0050                         // branch to shift d0 r1 mb9 vw0

/******************************************/
/* shift d0 r=1 mb=10                     */
/******************************************/
label_0051: // r1 mb10 
v_cmp_eq_u32 vcc, v3, 0x0                          // 
s_cbranch_vccnz label_0052                         // branch to shift d0 r1 mb10 vw0

/******************************************/
/* shift d0 r=1 mb=11                     */
/******************************************/
label_0053: // r1 mb11 
v_cmp_eq_u32 vcc, v3, 0x0                          // 
s_cbranch_vccnz label_0054                         // branch to shift d0 r1 mb11 vw0

/******************************************/
/* shift d0 r=2 mb=0                      */
/******************************************/
label_0056: // r2 mb0 
v_cmp_eq_u32 vcc, v3, 0x0                          // 
s_cbranch_vccnz label_0057                         // branch to shift d0 r2 mb0 vw0

/******************************************/
/* shift d0 r=2 mb=1                      */
/******************************************/
label_0058: // r2 mb1 
v_cmp_eq_u32 vcc, v3, 0x0                          // 
s_cbranch_vccnz label_0059                         // branch to shift d0 r2 mb1 vw0

/******************************************/
/* shift d0 r=2 mb=2                      */
/******************************************/
label_0060: // r2 mb2 
v_cmp_eq_u32 vcc, v3, 0x0                          // 
s_cbranch_vccnz label_0061                         // branch to shift d0 r2 mb2 vw0

/******************************************/
/* shift d0 r=2 mb=3                      */
/******************************************/
label_0062: // r2 mb3 
v_cmp_eq_u32 vcc, v3, 0x0                          // 
s_cbranch_vccnz label_0063                         // branch to shift d0 r2 mb3 vw0

/******************************************/
/* shift d0 r=2 mb=4                      */
/******************************************/
label_0064: // r2 mb4 
v_cmp_eq_u32 vcc, v3, 0x0                          // 
s_cbranch_vccnz label_0065                         // branch to shift d0 r2 mb4 vw0

/******************************************/
/* shift d0 r=2 mb=5                      */
/******************************************/
label_0066: // r2 mb5 
v_cmp_eq_u32 vcc, v3, 0x0                          // 
s_cbranch_vccnz label_0067                         // branch to shift d0 r2 mb5 vw0

/******************************************/
/* shift d0 r=2 mb=6                      */
/******************************************/
label_0068: // r2 mb6 
v_cmp_eq_u32 vcc, v3, 0x0                          // 
s_cbranch_vccnz label_0069                         // branch to shift d0 r2 mb6 vw0

/******************************************/
/* shift d0 r=2 mb=7                      */
/******************************************/
label_0070: // r2 mb7 
v_cmp_eq_u32 vcc, v3, 0x0                          // 
s_cbranch_vccnz label_0071                         // branch to shift d0 r2 mb7 vw0

/******************************************/
/* shift d0 r=2 mb=8                      */
/******************************************/
label_0072: // r2 mb8 
v_cmp_eq_u32 vcc, v3, 0x0                          // 
s_cbranch_vccnz label_0073                         // branch to shift d0 r2 mb8 vw0

/******************************************/
/* shift d0 r=2 mb=9                      */
/******************************************/
label_0074: // r2 mb9 
v_cmp_eq_u32 vcc, v3, 0x0                          // 
s_cbranch_vccnz label_0075                         // branch to shift d0 r2 mb9 vw0

/******************************************/
/* shift d0 r=2 mb=10                     */
/******************************************/
label_0076: // r2 mb10 
v_cmp_eq_u32 vcc, v3, 0x0                          // 
s_cbranch_vccnz label_0077                         // branch to shift d0 r2 mb10 vw0

/******************************************/
/* shift d0 r=2 mb=11                     */
/******************************************/
label_0078: // r2 mb11 
v_cmp_eq_u32 vcc, v3, 0x0                          // 
s_cbranch_vccnz label_0079                         // branch to shift d0 r2 mb11 vw0

/******************************************/
/* shift d0 r=3 mb=0                      */
/******************************************/
label_0081: // r3 mb0 
v_cmp_eq_u32 vcc, v3, 0x0                          // 
s_cbranch_vccnz label_0082                         // branch to shift d0 r3 mb0 vw0

/******************************************/
/* shift d0 r=3 mb=1                      */
/******************************************/
label_0083: // r3 mb1 
v_cmp_eq_u32 vcc, v3, 0x0                          // 
s_cbranch_vccnz label_0084                         // branch to shift d0 r3 mb1 vw0

/******************************************/
/* shift d0 r=3 mb=2                      */
/******************************************/
label_0085: // r3 mb2 
v_cmp_eq_u32 vcc, v3, 0x0                          // 
s_cbranch_vccnz label_0086                         // branch to shift d0 r3 mb2 vw0

/******************************************/
/* shift d0 r=3 mb=3                      */
/******************************************/
label_0087: // r3 mb3 
v_cmp_eq_u32 vcc, v3, 0x0                          // 
s_cbranch_vccnz label_0088                         // branch to shift d0 r3 mb3 vw0

/******************************************/
/* shift d0 r=3 mb=4                      */
/******************************************/
label_0089: // r3 mb4 
v_cmp_eq_u32 vcc, v3, 0x0                          // 
s_cbranch_vccnz label_0090                         // branch to shift d0 r3 mb4 vw0

/******************************************/
/* shift d0 r=3 mb=5                      */
/******************************************/
label_0091: // r3 mb5 
v_cmp_eq_u32 vcc, v3, 0x0                          // 
s_cbranch_vccnz label_0092                         // branch to shift d0 r3 mb5 vw0

/******************************************/
/* shift d0 r=3 mb=6                      */
/******************************************/
label_0093: // r3 mb6 
v_cmp_eq_u32 vcc, v3, 0x0                          // 
s_cbranch_vccnz label_0094                         // branch to shift d0 r3 mb6 vw0

/******************************************/
/* shift d0 r=3 mb=7                      */
/******************************************/
label_0095: // r3 mb7 
v_cmp_eq_u32 vcc, v3, 0x0                          // 
s_cbranch_vccnz label_0096                         // branch to shift d0 r3 mb7 vw0

/******************************************/
/* shift d0 r=3 mb=8                      */
/******************************************/
label_0097: // r3 mb8 
v_cmp_eq_u32 vcc, v3, 0x0                          // 
s_cbranch_vccnz label_0098                         // branch to shift d0 r3 mb8 vw0

/******************************************/
/* shift d0 r=3 mb=9                      */
/******************************************/
label_0099: // r3 mb9 
v_cmp_eq_u32 vcc, v3, 0x0                          // 
s_cbranch_vccnz label_0100                         // branch to shift d0 r3 mb9 vw0

/******************************************/
/* shift d0 r=3 mb=10                     */
/******************************************/
label_0101: // r3 mb10 
v_cmp_eq_u32 vcc, v3, 0x0                          // 
s_cbranch_vccnz label_0102                         // branch to shift d0 r3 mb10 vw0

/******************************************/
/* shift d0 r=3 mb=11                     */
/******************************************/
label_0103: // r3 mb11 
v_cmp_eq_u32 vcc, v3, 0x0                          // 
s_cbranch_vccnz label_0104                         // branch to shift d0 r3 mb11 vw0

/******************************************/
/* shift d0 r=1 mb=0 vw0                  */
/******************************************/
label_0032: // r1 mb0 vw0 
s_mov_b32 s32, 0                                   // 
_v_cmpx_eq_u32 s[32:33], v4, s32                   // is thread in edge glvw region
v_and_b32 v0, 63, v[vgprSerial]                    // permute register between threads
v_lshlrev_b32 v0, 2, v0                            // permute register between threads
v_accvgpr_read_b32 v5, acc3                        // glvw 1 mb 0 tt1 0 r 0
s_nop 1                                            // v_accvgpr read vgpr after write vgpr: 2 wait states
v_accvgpr_write_b32 acc0, v5                       // 
s_mov_b64 s[32:33], 0xFFFFFFFFFFFFFFFF             // to restore all threads active
s_or_saveexec_b64 vcc, s[32:33]                    // all threads active
s_branch label_0105                                // done shifting


/******************************************/
/* shift d0 r=1 mb=1 vw0                  */
/******************************************/
label_0034: // r1 mb1 vw0 
s_mov_b32 s32, 2                                   // 
_v_cmpx_eq_u32 s[32:33], v4, s32                   // is thread in edge glvw region
v_and_b32 v0, 63, v[vgprSerial]                    // permute register between threads
v_lshlrev_b32 v0, 2, v0                            // permute register between threads
v_accvgpr_read_b32 v5, acc7                        // glvw 1 mb 1 tt1 0 r 0
s_nop 1                                            // v_accvgpr read vgpr after write vgpr: 2 wait states
v_accvgpr_write_b32 acc4, v5                       // 
s_mov_b64 s[32:33], 0xFFFFFFFFFFFFFFFF             // to restore all threads active
s_or_saveexec_b64 vcc, s[32:33]                    // all threads active
s_branch label_0105                                // done shifting


/******************************************/
/* shift d0 r=1 mb=2 vw0                  */
/******************************************/
label_0036: // r1 mb2 vw0 
s_mov_b32 s32, 4                                   // 
_v_cmpx_eq_u32 s[32:33], v4, s32                   // is thread in edge glvw region
v_and_b32 v0, 63, v[vgprSerial]                    // permute register between threads
v_lshlrev_b32 v0, 2, v0                            // permute register between threads
v_accvgpr_read_b32 v5, acc11                       // glvw 1 mb 2 tt1 0 r 0
s_nop 1                                            // v_accvgpr read vgpr after write vgpr: 2 wait states
v_accvgpr_write_b32 acc8, v5                       // 
s_mov_b64 s[32:33], 0xFFFFFFFFFFFFFFFF             // to restore all threads active
s_or_saveexec_b64 vcc, s[32:33]                    // all threads active
s_branch label_0105                                // done shifting


/******************************************/
/* shift d0 r=1 mb=3 vw0                  */
/******************************************/
label_0038: // r1 mb3 vw0 
s_mov_b32 s32, 6                                   // 
_v_cmpx_eq_u32 s[32:33], v4, s32                   // is thread in edge glvw region
v_and_b32 v0, 63, v[vgprSerial]                    // permute register between threads
v_lshlrev_b32 v0, 2, v0                            // permute register between threads
v_accvgpr_read_b32 v5, acc15                       // glvw 1 mb 3 tt1 0 r 0
s_nop 1                                            // v_accvgpr read vgpr after write vgpr: 2 wait states
v_accvgpr_write_b32 acc12, v5                      // 
s_mov_b64 s[32:33], 0xFFFFFFFFFFFFFFFF             // to restore all threads active
s_or_saveexec_b64 vcc, s[32:33]                    // all threads active
s_branch label_0105                                // done shifting


/******************************************/
/* shift d0 r=1 mb=4 vw0                  */
/******************************************/
label_0040: // r1 mb4 vw0 
s_mov_b32 s32, 16                                  // 
_v_cmpx_eq_u32 s[32:33], v4, s32                   // is thread in edge glvw region
v_and_b32 v0, 63, v[vgprSerial]                    // permute register between threads
v_lshlrev_b32 v0, 2, v0                            // permute register between threads
v_accvgpr_read_b32 v5, acc19                       // glvw 1 mb 4 tt1 0 r 0
s_nop 1                                            // v_accvgpr read vgpr after write vgpr: 2 wait states
v_accvgpr_write_b32 acc16, v5                      // 
s_mov_b64 s[32:33], 0xFFFFFFFFFFFFFFFF             // to restore all threads active
s_or_saveexec_b64 vcc, s[32:33]                    // all threads active
s_branch label_0105                                // done shifting


/******************************************/
/* shift d0 r=1 mb=5 vw0                  */
/******************************************/
label_0042: // r1 mb5 vw0 
s_mov_b32 s32, 18                                  // 
_v_cmpx_eq_u32 s[32:33], v4, s32                   // is thread in edge glvw region
v_and_b32 v0, 63, v[vgprSerial]                    // permute register between threads
v_lshlrev_b32 v0, 2, v0                            // permute register between threads
v_accvgpr_read_b32 v5, acc23                       // glvw 1 mb 5 tt1 0 r 0
s_nop 1                                            // v_accvgpr read vgpr after write vgpr: 2 wait states
v_accvgpr_write_b32 acc20, v5                      // 
s_mov_b64 s[32:33], 0xFFFFFFFFFFFFFFFF             // to restore all threads active
s_or_saveexec_b64 vcc, s[32:33]                    // all threads active
s_branch label_0105                                // done shifting


/******************************************/
/* shift d0 r=1 mb=6 vw0                  */
/******************************************/
label_0044: // r1 mb6 vw0 
s_mov_b32 s32, 20                                  // 
_v_cmpx_eq_u32 s[32:33], v4, s32                   // is thread in edge glvw region
v_and_b32 v0, 63, v[vgprSerial]                    // permute register between threads
v_lshlrev_b32 v0, 2, v0                            // permute register between threads
v_accvgpr_read_b32 v5, acc27                       // glvw 1 mb 6 tt1 0 r 0
s_nop 1                                            // v_accvgpr read vgpr after write vgpr: 2 wait states
v_accvgpr_write_b32 acc24, v5                      // 
s_mov_b64 s[32:33], 0xFFFFFFFFFFFFFFFF             // to restore all threads active
s_or_saveexec_b64 vcc, s[32:33]                    // all threads active
s_branch label_0105                                // done shifting


/******************************************/
/* shift d0 r=1 mb=7 vw0                  */
/******************************************/
label_0046: // r1 mb7 vw0 
s_mov_b32 s32, 22                                  // 
_v_cmpx_eq_u32 s[32:33], v4, s32                   // is thread in edge glvw region
v_and_b32 v0, 63, v[vgprSerial]                    // permute register between threads
v_lshlrev_b32 v0, 2, v0                            // permute register between threads
v_accvgpr_read_b32 v5, acc31                       // glvw 1 mb 7 tt1 0 r 0
s_nop 1                                            // v_accvgpr read vgpr after write vgpr: 2 wait states
v_accvgpr_write_b32 acc28, v5                      // 
s_mov_b64 s[32:33], 0xFFFFFFFFFFFFFFFF             // to restore all threads active
s_or_saveexec_b64 vcc, s[32:33]                    // all threads active
s_branch label_0105                                // done shifting


/******************************************/
/* shift d0 r=1 mb=8 vw0                  */
/******************************************/
label_0048: // r1 mb8 vw0 
s_mov_b32 s32, 32                                  // 
_v_cmpx_eq_u32 s[32:33], v4, s32                   // is thread in edge glvw region
v_and_b32 v0, 63, v[vgprSerial]                    // permute register between threads
v_lshlrev_b32 v0, 2, v0                            // permute register between threads
v_accvgpr_read_b32 v5, acc35                       // glvw 1 mb 8 tt1 0 r 0
s_nop 1                                            // v_accvgpr read vgpr after write vgpr: 2 wait states
v_accvgpr_write_b32 acc32, v5                      // 
s_mov_b64 s[32:33], 0xFFFFFFFFFFFFFFFF             // to restore all threads active
s_or_saveexec_b64 vcc, s[32:33]                    // all threads active
s_branch label_0105                                // done shifting


/******************************************/
/* shift d0 r=1 mb=9 vw0                  */
/******************************************/
label_0050: // r1 mb9 vw0 
s_mov_b32 s32, 34                                  // 
_v_cmpx_eq_u32 s[32:33], v4, s32                   // is thread in edge glvw region
v_and_b32 v0, 63, v[vgprSerial]                    // permute register between threads
v_lshlrev_b32 v0, 2, v0                            // permute register between threads
v_accvgpr_read_b32 v5, acc39                       // glvw 1 mb 9 tt1 0 r 0
s_nop 1                                            // v_accvgpr read vgpr after write vgpr: 2 wait states
v_accvgpr_write_b32 acc36, v5                      // 
s_mov_b64 s[32:33], 0xFFFFFFFFFFFFFFFF             // to restore all threads active
s_or_saveexec_b64 vcc, s[32:33]                    // all threads active
s_branch label_0105                                // done shifting


/******************************************/
/* shift d0 r=1 mb=10 vw0                 */
/******************************************/
label_0052: // r1 mb10 vw0 
s_mov_b32 s32, 36                                  // 
_v_cmpx_eq_u32 s[32:33], v4, s32                   // is thread in edge glvw region
v_and_b32 v0, 63, v[vgprSerial]                    // permute register between threads
v_lshlrev_b32 v0, 2, v0                            // permute register between threads
v_accvgpr_read_b32 v5, acc43                       // glvw 1 mb 10 tt1 0 r 0
s_nop 1                                            // v_accvgpr read vgpr after write vgpr: 2 wait states
v_accvgpr_write_b32 acc40, v5                      // 
s_mov_b64 s[32:33], 0xFFFFFFFFFFFFFFFF             // to restore all threads active
s_or_saveexec_b64 vcc, s[32:33]                    // all threads active
s_branch label_0105                                // done shifting


/******************************************/
/* shift d0 r=1 mb=11 vw0                 */
/******************************************/
label_0054: // r1 mb11 vw0 
s_mov_b32 s32, 38                                  // 
_v_cmpx_eq_u32 s[32:33], v4, s32                   // is thread in edge glvw region
v_and_b32 v0, 63, v[vgprSerial]                    // permute register between threads
v_lshlrev_b32 v0, 2, v0                            // permute register between threads
v_accvgpr_read_b32 v5, acc47                       // glvw 1 mb 11 tt1 0 r 0
s_nop 1                                            // v_accvgpr read vgpr after write vgpr: 2 wait states
v_accvgpr_write_b32 acc44, v5                      // 
s_mov_b64 s[32:33], 0xFFFFFFFFFFFFFFFF             // to restore all threads active
s_or_saveexec_b64 vcc, s[32:33]                    // all threads active
s_branch label_0105                                // done shifting


/******************************************/
/* shift d0 r=2 mb=0 vw0                  */
/******************************************/
label_0057: // r2 mb0 vw0 
s_mov_b32 s32, 0                                   // 
_v_cmpx_eq_u32 s[32:33], v4, s32                   // is thread in edge glvw region
v_and_b32 v0, 63, v[vgprSerial]                    // permute register between threads
v_lshlrev_b32 v0, 2, v0                            // permute register between threads
v_accvgpr_read_b32 v5, acc2                        // glvw 2 mb 0 tt1 0 r 0
v_accvgpr_read_b32 v6, acc3                        // glvw 2 mb 0 tt1 0 r 0
s_nop 1                                            // v_accvgpr read vgpr after write vgpr: 2 wait states
v_accvgpr_write_b32 acc0, v5                       // 
v_accvgpr_write_b32 acc1, v6                       // 
s_mov_b64 s[32:33], 0xFFFFFFFFFFFFFFFF             // to restore all threads active
s_or_saveexec_b64 vcc, s[32:33]                    // all threads active
s_branch label_0105                                // done shifting


/******************************************/
/* shift d0 r=2 mb=1 vw0                  */
/******************************************/
label_0059: // r2 mb1 vw0 
s_mov_b32 s32, 2                                   // 
_v_cmpx_eq_u32 s[32:33], v4, s32                   // is thread in edge glvw region
v_and_b32 v0, 63, v[vgprSerial]                    // permute register between threads
v_lshlrev_b32 v0, 2, v0                            // permute register between threads
v_accvgpr_read_b32 v5, acc6                        // glvw 2 mb 1 tt1 0 r 0
v_accvgpr_read_b32 v6, acc7                        // glvw 2 mb 1 tt1 0 r 0
s_nop 1                                            // v_accvgpr read vgpr after write vgpr: 2 wait states
v_accvgpr_write_b32 acc4, v5                       // 
v_accvgpr_write_b32 acc5, v6                       // 
s_mov_b64 s[32:33], 0xFFFFFFFFFFFFFFFF             // to restore all threads active
s_or_saveexec_b64 vcc, s[32:33]                    // all threads active
s_branch label_0105                                // done shifting


/******************************************/
/* shift d0 r=2 mb=2 vw0                  */
/******************************************/
label_0061: // r2 mb2 vw0 
s_mov_b32 s32, 4                                   // 
_v_cmpx_eq_u32 s[32:33], v4, s32                   // is thread in edge glvw region
v_and_b32 v0, 63, v[vgprSerial]                    // permute register between threads
v_lshlrev_b32 v0, 2, v0                            // permute register between threads
v_accvgpr_read_b32 v5, acc10                       // glvw 2 mb 2 tt1 0 r 0
v_accvgpr_read_b32 v6, acc11                       // glvw 2 mb 2 tt1 0 r 0
s_nop 1                                            // v_accvgpr read vgpr after write vgpr: 2 wait states
v_accvgpr_write_b32 acc8, v5                       // 
v_accvgpr_write_b32 acc9, v6                       // 
s_mov_b64 s[32:33], 0xFFFFFFFFFFFFFFFF             // to restore all threads active
s_or_saveexec_b64 vcc, s[32:33]                    // all threads active
s_branch label_0105                                // done shifting


/******************************************/
/* shift d0 r=2 mb=3 vw0                  */
/******************************************/
label_0063: // r2 mb3 vw0 
s_mov_b32 s32, 6                                   // 
_v_cmpx_eq_u32 s[32:33], v4, s32                   // is thread in edge glvw region
v_and_b32 v0, 63, v[vgprSerial]                    // permute register between threads
v_lshlrev_b32 v0, 2, v0                            // permute register between threads
v_accvgpr_read_b32 v5, acc14                       // glvw 2 mb 3 tt1 0 r 0
v_accvgpr_read_b32 v6, acc15                       // glvw 2 mb 3 tt1 0 r 0
s_nop 1                                            // v_accvgpr read vgpr after write vgpr: 2 wait states
v_accvgpr_write_b32 acc12, v5                      // 
v_accvgpr_write_b32 acc13, v6                      // 
s_mov_b64 s[32:33], 0xFFFFFFFFFFFFFFFF             // to restore all threads active
s_or_saveexec_b64 vcc, s[32:33]                    // all threads active
s_branch label_0105                                // done shifting


/******************************************/
/* shift d0 r=2 mb=4 vw0                  */
/******************************************/
label_0065: // r2 mb4 vw0 
s_mov_b32 s32, 16                                  // 
_v_cmpx_eq_u32 s[32:33], v4, s32                   // is thread in edge glvw region
v_and_b32 v0, 63, v[vgprSerial]                    // permute register between threads
v_lshlrev_b32 v0, 2, v0                            // permute register between threads
v_accvgpr_read_b32 v5, acc18                       // glvw 2 mb 4 tt1 0 r 0
v_accvgpr_read_b32 v6, acc19                       // glvw 2 mb 4 tt1 0 r 0
s_nop 1                                            // v_accvgpr read vgpr after write vgpr: 2 wait states
v_accvgpr_write_b32 acc16, v5                      // 
v_accvgpr_write_b32 acc17, v6                      // 
s_mov_b64 s[32:33], 0xFFFFFFFFFFFFFFFF             // to restore all threads active
s_or_saveexec_b64 vcc, s[32:33]                    // all threads active
s_branch label_0105                                // done shifting


/******************************************/
/* shift d0 r=2 mb=5 vw0                  */
/******************************************/
label_0067: // r2 mb5 vw0 
s_mov_b32 s32, 18                                  // 
_v_cmpx_eq_u32 s[32:33], v4, s32                   // is thread in edge glvw region
v_and_b32 v0, 63, v[vgprSerial]                    // permute register between threads
v_lshlrev_b32 v0, 2, v0                            // permute register between threads
v_accvgpr_read_b32 v5, acc22                       // glvw 2 mb 5 tt1 0 r 0
v_accvgpr_read_b32 v6, acc23                       // glvw 2 mb 5 tt1 0 r 0
s_nop 1                                            // v_accvgpr read vgpr after write vgpr: 2 wait states
v_accvgpr_write_b32 acc20, v5                      // 
v_accvgpr_write_b32 acc21, v6                      // 
s_mov_b64 s[32:33], 0xFFFFFFFFFFFFFFFF             // to restore all threads active
s_or_saveexec_b64 vcc, s[32:33]                    // all threads active
s_branch label_0105                                // done shifting


/******************************************/
/* shift d0 r=2 mb=6 vw0                  */
/******************************************/
label_0069: // r2 mb6 vw0 
s_mov_b32 s32, 20                                  // 
_v_cmpx_eq_u32 s[32:33], v4, s32                   // is thread in edge glvw region
v_and_b32 v0, 63, v[vgprSerial]                    // permute register between threads
v_lshlrev_b32 v0, 2, v0                            // permute register between threads
v_accvgpr_read_b32 v5, acc26                       // glvw 2 mb 6 tt1 0 r 0
v_accvgpr_read_b32 v6, acc27                       // glvw 2 mb 6 tt1 0 r 0
s_nop 1                                            // v_accvgpr read vgpr after write vgpr: 2 wait states
v_accvgpr_write_b32 acc24, v5                      // 
v_accvgpr_write_b32 acc25, v6                      // 
s_mov_b64 s[32:33], 0xFFFFFFFFFFFFFFFF             // to restore all threads active
s_or_saveexec_b64 vcc, s[32:33]                    // all threads active
s_branch label_0105                                // done shifting


/******************************************/
/* shift d0 r=2 mb=7 vw0                  */
/******************************************/
label_0071: // r2 mb7 vw0 
s_mov_b32 s32, 22                                  // 
_v_cmpx_eq_u32 s[32:33], v4, s32                   // is thread in edge glvw region
v_and_b32 v0, 63, v[vgprSerial]                    // permute register between threads
v_lshlrev_b32 v0, 2, v0                            // permute register between threads
v_accvgpr_read_b32 v5, acc30                       // glvw 2 mb 7 tt1 0 r 0
v_accvgpr_read_b32 v6, acc31                       // glvw 2 mb 7 tt1 0 r 0
s_nop 1                                            // v_accvgpr read vgpr after write vgpr: 2 wait states
v_accvgpr_write_b32 acc28, v5                      // 
v_accvgpr_write_b32 acc29, v6                      // 
s_mov_b64 s[32:33], 0xFFFFFFFFFFFFFFFF             // to restore all threads active
s_or_saveexec_b64 vcc, s[32:33]                    // all threads active
s_branch label_0105                                // done shifting


/******************************************/
/* shift d0 r=2 mb=8 vw0                  */
/******************************************/
label_0073: // r2 mb8 vw0 
s_mov_b32 s32, 32                                  // 
_v_cmpx_eq_u32 s[32:33], v4, s32                   // is thread in edge glvw region
v_and_b32 v0, 63, v[vgprSerial]                    // permute register between threads
v_lshlrev_b32 v0, 2, v0                            // permute register between threads
v_accvgpr_read_b32 v5, acc34                       // glvw 2 mb 8 tt1 0 r 0
v_accvgpr_read_b32 v6, acc35                       // glvw 2 mb 8 tt1 0 r 0
s_nop 1                                            // v_accvgpr read vgpr after write vgpr: 2 wait states
v_accvgpr_write_b32 acc32, v5                      // 
v_accvgpr_write_b32 acc33, v6                      // 
s_mov_b64 s[32:33], 0xFFFFFFFFFFFFFFFF             // to restore all threads active
s_or_saveexec_b64 vcc, s[32:33]                    // all threads active
s_branch label_0105                                // done shifting


/******************************************/
/* shift d0 r=2 mb=9 vw0                  */
/******************************************/
label_0075: // r2 mb9 vw0 
s_mov_b32 s32, 34                                  // 
_v_cmpx_eq_u32 s[32:33], v4, s32                   // is thread in edge glvw region
v_and_b32 v0, 63, v[vgprSerial]                    // permute register between threads
v_lshlrev_b32 v0, 2, v0                            // permute register between threads
v_accvgpr_read_b32 v5, acc38                       // glvw 2 mb 9 tt1 0 r 0
v_accvgpr_read_b32 v6, acc39                       // glvw 2 mb 9 tt1 0 r 0
s_nop 1                                            // v_accvgpr read vgpr after write vgpr: 2 wait states
v_accvgpr_write_b32 acc36, v5                      // 
v_accvgpr_write_b32 acc37, v6                      // 
s_mov_b64 s[32:33], 0xFFFFFFFFFFFFFFFF             // to restore all threads active
s_or_saveexec_b64 vcc, s[32:33]                    // all threads active
s_branch label_0105                                // done shifting


/******************************************/
/* shift d0 r=2 mb=10 vw0                 */
/******************************************/
label_0077: // r2 mb10 vw0 
s_mov_b32 s32, 36                                  // 
_v_cmpx_eq_u32 s[32:33], v4, s32                   // is thread in edge glvw region
v_and_b32 v0, 63, v[vgprSerial]                    // permute register between threads
v_lshlrev_b32 v0, 2, v0                            // permute register between threads
v_accvgpr_read_b32 v5, acc42                       // glvw 2 mb 10 tt1 0 r 0
v_accvgpr_read_b32 v6, acc43                       // glvw 2 mb 10 tt1 0 r 0
s_nop 1                                            // v_accvgpr read vgpr after write vgpr: 2 wait states
v_accvgpr_write_b32 acc40, v5                      // 
v_accvgpr_write_b32 acc41, v6                      // 
s_mov_b64 s[32:33], 0xFFFFFFFFFFFFFFFF             // to restore all threads active
s_or_saveexec_b64 vcc, s[32:33]                    // all threads active
s_branch label_0105                                // done shifting


/******************************************/
/* shift d0 r=2 mb=11 vw0                 */
/******************************************/
label_0079: // r2 mb11 vw0 
s_mov_b32 s32, 38                                  // 
_v_cmpx_eq_u32 s[32:33], v4, s32                   // is thread in edge glvw region
v_and_b32 v0, 63, v[vgprSerial]                    // permute register between threads
v_lshlrev_b32 v0, 2, v0                            // permute register between threads
v_accvgpr_read_b32 v5, acc46                       // glvw 2 mb 11 tt1 0 r 0
v_accvgpr_read_b32 v6, acc47                       // glvw 2 mb 11 tt1 0 r 0
s_nop 1                                            // v_accvgpr read vgpr after write vgpr: 2 wait states
v_accvgpr_write_b32 acc44, v5                      // 
v_accvgpr_write_b32 acc45, v6                      // 
s_mov_b64 s[32:33], 0xFFFFFFFFFFFFFFFF             // to restore all threads active
s_or_saveexec_b64 vcc, s[32:33]                    // all threads active
s_branch label_0105                                // done shifting


/******************************************/
/* shift d0 r=3 mb=0 vw0                  */
/******************************************/
label_0082: // r3 mb0 vw0 
s_mov_b32 s32, 0                                   // 
_v_cmpx_eq_u32 s[32:33], v4, s32                   // is thread in edge glvw region
v_and_b32 v0, 63, v[vgprSerial]                    // permute register between threads
v_lshlrev_b32 v0, 2, v0                            // permute register between threads
v_accvgpr_read_b32 v5, acc1                        // glvw 3 mb 0 tt1 0 r 0
v_accvgpr_read_b32 v6, acc2                        // glvw 3 mb 0 tt1 0 r 0
v_accvgpr_read_b32 v7, acc3                        // glvw 3 mb 0 tt1 0 r 0
s_nop 1                                            // v_accvgpr read vgpr after write vgpr: 2 wait states
v_accvgpr_write_b32 acc0, v5                       // 
v_accvgpr_write_b32 acc1, v6                       // 
v_accvgpr_write_b32 acc2, v7                       // 
s_mov_b64 s[32:33], 0xFFFFFFFFFFFFFFFF             // to restore all threads active
s_or_saveexec_b64 vcc, s[32:33]                    // all threads active
s_branch label_0105                                // done shifting


/******************************************/
/* shift d0 r=3 mb=1 vw0                  */
/******************************************/
label_0084: // r3 mb1 vw0 
s_mov_b32 s32, 2                                   // 
_v_cmpx_eq_u32 s[32:33], v4, s32                   // is thread in edge glvw region
v_and_b32 v0, 63, v[vgprSerial]                    // permute register between threads
v_lshlrev_b32 v0, 2, v0                            // permute register between threads
v_accvgpr_read_b32 v5, acc5                        // glvw 3 mb 1 tt1 0 r 0
v_accvgpr_read_b32 v6, acc6                        // glvw 3 mb 1 tt1 0 r 0
v_accvgpr_read_b32 v7, acc7                        // glvw 3 mb 1 tt1 0 r 0
s_nop 1                                            // v_accvgpr read vgpr after write vgpr: 2 wait states
v_accvgpr_write_b32 acc4, v5                       // 
v_accvgpr_write_b32 acc5, v6                       // 
v_accvgpr_write_b32 acc6, v7                       // 
s_mov_b64 s[32:33], 0xFFFFFFFFFFFFFFFF             // to restore all threads active
s_or_saveexec_b64 vcc, s[32:33]                    // all threads active
s_branch label_0105                                // done shifting


/******************************************/
/* shift d0 r=3 mb=2 vw0                  */
/******************************************/
label_0086: // r3 mb2 vw0 
s_mov_b32 s32, 4                                   // 
_v_cmpx_eq_u32 s[32:33], v4, s32                   // is thread in edge glvw region
v_and_b32 v0, 63, v[vgprSerial]                    // permute register between threads
v_lshlrev_b32 v0, 2, v0                            // permute register between threads
v_accvgpr_read_b32 v5, acc9                        // glvw 3 mb 2 tt1 0 r 0
v_accvgpr_read_b32 v6, acc10                       // glvw 3 mb 2 tt1 0 r 0
v_accvgpr_read_b32 v7, acc11                       // glvw 3 mb 2 tt1 0 r 0
s_nop 1                                            // v_accvgpr read vgpr after write vgpr: 2 wait states
v_accvgpr_write_b32 acc8, v5                       // 
v_accvgpr_write_b32 acc9, v6                       // 
v_accvgpr_write_b32 acc10, v7                      // 
s_mov_b64 s[32:33], 0xFFFFFFFFFFFFFFFF             // to restore all threads active
s_or_saveexec_b64 vcc, s[32:33]                    // all threads active
s_branch label_0105                                // done shifting


/******************************************/
/* shift d0 r=3 mb=3 vw0                  */
/******************************************/
label_0088: // r3 mb3 vw0 
s_mov_b32 s32, 6                                   // 
_v_cmpx_eq_u32 s[32:33], v4, s32                   // is thread in edge glvw region
v_and_b32 v0, 63, v[vgprSerial]                    // permute register between threads
v_lshlrev_b32 v0, 2, v0                            // permute register between threads
v_accvgpr_read_b32 v5, acc13                       // glvw 3 mb 3 tt1 0 r 0
v_accvgpr_read_b32 v6, acc14                       // glvw 3 mb 3 tt1 0 r 0
v_accvgpr_read_b32 v7, acc15                       // glvw 3 mb 3 tt1 0 r 0
s_nop 1                                            // v_accvgpr read vgpr after write vgpr: 2 wait states
v_accvgpr_write_b32 acc12, v5                      // 
v_accvgpr_write_b32 acc13, v6                      // 
v_accvgpr_write_b32 acc14, v7                      // 
s_mov_b64 s[32:33], 0xFFFFFFFFFFFFFFFF             // to restore all threads active
s_or_saveexec_b64 vcc, s[32:33]                    // all threads active
s_branch label_0105                                // done shifting


/******************************************/
/* shift d0 r=3 mb=4 vw0                  */
/******************************************/
label_0090: // r3 mb4 vw0 
s_mov_b32 s32, 16                                  // 
_v_cmpx_eq_u32 s[32:33], v4, s32                   // is thread in edge glvw region
v_and_b32 v0, 63, v[vgprSerial]                    // permute register between threads
v_lshlrev_b32 v0, 2, v0                            // permute register between threads
v_accvgpr_read_b32 v5, acc17                       // glvw 3 mb 4 tt1 0 r 0
v_accvgpr_read_b32 v6, acc18                       // glvw 3 mb 4 tt1 0 r 0
v_accvgpr_read_b32 v7, acc19                       // glvw 3 mb 4 tt1 0 r 0
s_nop 1                                            // v_accvgpr read vgpr after write vgpr: 2 wait states
v_accvgpr_write_b32 acc16, v5                      // 
v_accvgpr_write_b32 acc17, v6                      // 
v_accvgpr_write_b32 acc18, v7                      // 
s_mov_b64 s[32:33], 0xFFFFFFFFFFFFFFFF             // to restore all threads active
s_or_saveexec_b64 vcc, s[32:33]                    // all threads active
s_branch label_0105                                // done shifting


/******************************************/
/* shift d0 r=3 mb=5 vw0                  */
/******************************************/
label_0092: // r3 mb5 vw0 
s_mov_b32 s32, 18                                  // 
_v_cmpx_eq_u32 s[32:33], v4, s32                   // is thread in edge glvw region
v_and_b32 v0, 63, v[vgprSerial]                    // permute register between threads
v_lshlrev_b32 v0, 2, v0                            // permute register between threads
v_accvgpr_read_b32 v5, acc21                       // glvw 3 mb 5 tt1 0 r 0
v_accvgpr_read_b32 v6, acc22                       // glvw 3 mb 5 tt1 0 r 0
v_accvgpr_read_b32 v7, acc23                       // glvw 3 mb 5 tt1 0 r 0
s_nop 1                                            // v_accvgpr read vgpr after write vgpr: 2 wait states
v_accvgpr_write_b32 acc20, v5                      // 
v_accvgpr_write_b32 acc21, v6                      // 
v_accvgpr_write_b32 acc22, v7                      // 
s_mov_b64 s[32:33], 0xFFFFFFFFFFFFFFFF             // to restore all threads active
s_or_saveexec_b64 vcc, s[32:33]                    // all threads active
s_branch label_0105                                // done shifting


/******************************************/
/* shift d0 r=3 mb=6 vw0                  */
/******************************************/
label_0094: // r3 mb6 vw0 
s_mov_b32 s32, 20                                  // 
_v_cmpx_eq_u32 s[32:33], v4, s32                   // is thread in edge glvw region
v_and_b32 v0, 63, v[vgprSerial]                    // permute register between threads
v_lshlrev_b32 v0, 2, v0                            // permute register between threads
v_accvgpr_read_b32 v5, acc25                       // glvw 3 mb 6 tt1 0 r 0
v_accvgpr_read_b32 v6, acc26                       // glvw 3 mb 6 tt1 0 r 0
v_accvgpr_read_b32 v7, acc27                       // glvw 3 mb 6 tt1 0 r 0
s_nop 1                                            // v_accvgpr read vgpr after write vgpr: 2 wait states
v_accvgpr_write_b32 acc24, v5                      // 
v_accvgpr_write_b32 acc25, v6                      // 
v_accvgpr_write_b32 acc26, v7                      // 
s_mov_b64 s[32:33], 0xFFFFFFFFFFFFFFFF             // to restore all threads active
s_or_saveexec_b64 vcc, s[32:33]                    // all threads active
s_branch label_0105                                // done shifting


/******************************************/
/* shift d0 r=3 mb=7 vw0                  */
/******************************************/
label_0096: // r3 mb7 vw0 
s_mov_b32 s32, 22                                  // 
_v_cmpx_eq_u32 s[32:33], v4, s32                   // is thread in edge glvw region
v_and_b32 v0, 63, v[vgprSerial]                    // permute register between threads
v_lshlrev_b32 v0, 2, v0                            // permute register between threads
v_accvgpr_read_b32 v5, acc29                       // glvw 3 mb 7 tt1 0 r 0
v_accvgpr_read_b32 v6, acc30                       // glvw 3 mb 7 tt1 0 r 0
v_accvgpr_read_b32 v7, acc31                       // glvw 3 mb 7 tt1 0 r 0
s_nop 1                                            // v_accvgpr read vgpr after write vgpr: 2 wait states
v_accvgpr_write_b32 acc28, v5                      // 
v_accvgpr_write_b32 acc29, v6                      // 
v_accvgpr_write_b32 acc30, v7                      // 
s_mov_b64 s[32:33], 0xFFFFFFFFFFFFFFFF             // to restore all threads active
s_or_saveexec_b64 vcc, s[32:33]                    // all threads active
s_branch label_0105                                // done shifting


/******************************************/
/* shift d0 r=3 mb=8 vw0                  */
/******************************************/
label_0098: // r3 mb8 vw0 
s_mov_b32 s32, 32                                  // 
_v_cmpx_eq_u32 s[32:33], v4, s32                   // is thread in edge glvw region
v_and_b32 v0, 63, v[vgprSerial]                    // permute register between threads
v_lshlrev_b32 v0, 2, v0                            // permute register between threads
v_accvgpr_read_b32 v5, acc33                       // glvw 3 mb 8 tt1 0 r 0
v_accvgpr_read_b32 v6, acc34                       // glvw 3 mb 8 tt1 0 r 0
v_accvgpr_read_b32 v7, acc35                       // glvw 3 mb 8 tt1 0 r 0
s_nop 1                                            // v_accvgpr read vgpr after write vgpr: 2 wait states
v_accvgpr_write_b32 acc32, v5                      // 
v_accvgpr_write_b32 acc33, v6                      // 
v_accvgpr_write_b32 acc34, v7                      // 
s_mov_b64 s[32:33], 0xFFFFFFFFFFFFFFFF             // to restore all threads active
s_or_saveexec_b64 vcc, s[32:33]                    // all threads active
s_branch label_0105                                // done shifting


/******************************************/
/* shift d0 r=3 mb=9 vw0                  */
/******************************************/
label_0100: // r3 mb9 vw0 
s_mov_b32 s32, 34                                  // 
_v_cmpx_eq_u32 s[32:33], v4, s32                   // is thread in edge glvw region
v_and_b32 v0, 63, v[vgprSerial]                    // permute register between threads
v_lshlrev_b32 v0, 2, v0                            // permute register between threads
v_accvgpr_read_b32 v5, acc37                       // glvw 3 mb 9 tt1 0 r 0
v_accvgpr_read_b32 v6, acc38                       // glvw 3 mb 9 tt1 0 r 0
v_accvgpr_read_b32 v7, acc39                       // glvw 3 mb 9 tt1 0 r 0
s_nop 1                                            // v_accvgpr read vgpr after write vgpr: 2 wait states
v_accvgpr_write_b32 acc36, v5                      // 
v_accvgpr_write_b32 acc37, v6                      // 
v_accvgpr_write_b32 acc38, v7                      // 
s_mov_b64 s[32:33], 0xFFFFFFFFFFFFFFFF             // to restore all threads active
s_or_saveexec_b64 vcc, s[32:33]                    // all threads active
s_branch label_0105                                // done shifting


/******************************************/
/* shift d0 r=3 mb=10 vw0                 */
/******************************************/
label_0102: // r3 mb10 vw0 
s_mov_b32 s32, 36                                  // 
_v_cmpx_eq_u32 s[32:33], v4, s32                   // is thread in edge glvw region
v_and_b32 v0, 63, v[vgprSerial]                    // permute register between threads
v_lshlrev_b32 v0, 2, v0                            // permute register between threads
v_accvgpr_read_b32 v5, acc41                       // glvw 3 mb 10 tt1 0 r 0
v_accvgpr_read_b32 v6, acc42                       // glvw 3 mb 10 tt1 0 r 0
v_accvgpr_read_b32 v7, acc43                       // glvw 3 mb 10 tt1 0 r 0
s_nop 1                                            // v_accvgpr read vgpr after write vgpr: 2 wait states
v_accvgpr_write_b32 acc40, v5                      // 
v_accvgpr_write_b32 acc41, v6                      // 
v_accvgpr_write_b32 acc42, v7                      // 
s_mov_b64 s[32:33], 0xFFFFFFFFFFFFFFFF             // to restore all threads active
s_or_saveexec_b64 vcc, s[32:33]                    // all threads active
s_branch label_0105                                // done shifting


/******************************************/
/* shift d0 r=3 mb=11 vw0                 */
/******************************************/
label_0104: // r3 mb11 vw0 
s_mov_b32 s32, 38                                  // 
_v_cmpx_eq_u32 s[32:33], v4, s32                   // is thread in edge glvw region
v_and_b32 v0, 63, v[vgprSerial]                    // permute register between threads
v_lshlrev_b32 v0, 2, v0                            // permute register between threads
v_accvgpr_read_b32 v5, acc45                       // glvw 3 mb 11 tt1 0 r 0
v_accvgpr_read_b32 v6, acc46                       // glvw 3 mb 11 tt1 0 r 0
v_accvgpr_read_b32 v7, acc47                       // glvw 3 mb 11 tt1 0 r 0
s_nop 1                                            // v_accvgpr read vgpr after write vgpr: 2 wait states
v_accvgpr_write_b32 acc44, v5                      // 
v_accvgpr_write_b32 acc45, v6                      // 
v_accvgpr_write_b32 acc46, v7                      // 
s_mov_b64 s[32:33], 0xFFFFFFFFFFFFFFFF             // to restore all threads active
s_or_saveexec_b64 vcc, s[32:33]                    // all threads active
s_branch label_0105                                // done shifting

label_0105: // end shift0


	;; [unrolled: 1-line block ×3, first 2 shown]
/* not-LocalSplitU: global write indices */

/* computeStoreVgprs */
v_lshrrev_b32 v4, 6, v[vgprSerial]                 // v4 = v[vgprSerial] / 64
v_lshrrev_b32 v1, 1, v4                            // v1 = v4 / 2
v_mul_lo_u32 v1, 0x20, v1                          // wave coordination offset 1
v_and_b32 v5, 31, v[vgprSerial]                    // v5 = v[vgprSerial] % 32
_v_add_lshl_u32 v1, v5, v1, 0                      // coordination 1 = vwb *(wave_id1 + tid1)
v_mul_lo_u32 v2, v1, s[sgprStrideC1J]              //  offset 1
v_mul_lo_u32 v3, v1, s[sgprStrideD1J]              //  offset 1
v_and_b32 v0, 63, v[vgprSerial]                    // v0 = v[vgprSerial] % 64
v_lshrrev_b32 v0, 5, v0                            // v0 = v0 / 32
v_lshlrev_b32 v0, 0x2, v0                          // thread0 * continuous_output
v_and_b32 v5, 1, v4                                // v5 = v4 % 2
v_mul_lo_u32 v5, 0x20, v5                          // wave coordination offset 0
_v_add_lshl_u32 v0, v5, v0, 0                      // coordination 0 = vwa *(wave_id0 + tid0)
s_mul_i32 s31, 192, s[sgprWorkGroup0]              // wgp0 * MT0
_v_add_u32 v0, s31, v0                             // coord 0 = (tid0/MI_m)*4 + waveG0*MIB_m + MT0*SG0
s_mul_i32 s31, 64, s[sgprWorkGroup1]               // wgp1 * MT1
_v_add_u32 v1, s31, v1                             // coord 1 = (tid0%MI_m) + waveG1*MIB_n + MT1*SG1


/* not-LocalSplitU: global write */

s_cmpk_eq_u32 s[sgprBeta], 0x0                     // Beta == 0
s_cbranch_scc0 GW_Beta_144                         // Branch if Beta is not zero

s_mov_b32 s35, 0x0                                 // STATIC_DIV: divisior=192
s_mul_i32 s34, 0x2aa, s[sgprSizeI]                 // tmp1 = dividend * magic hi
s_lshl_b64 s[34:35], s[34:35], 0x10                // left shift 16 bits
s_mul_i32 s33, s[sgprSizeI], 0xaaab                // tmp0 = dividend * magic lo
s_add_u32 s34, s33, s34                            // add lo
s_addc_u32 s35, s35, 0x0                           // add hi
s_lshr_b64 s[34:35], s[34:35], 0x21                // tmp1 = (dividend * magic) << shift
s_mov_b32 s33, s34                                 // quotient
s_mul_i32 s34, s33, 0xc0                           // quotient*divisor
s_sub_u32 s32, s[sgprSizeI], s34                   // rReg = dividend - quotient*divisor
s_add_u32 s33, -0x1, s[sgprNumWorkGroups0]         // 
s_cmp_ge_u32 s[sgprWorkGroup0], s33                // wg0 >= nwg0-1 ?
s_cselect_b32 s32, s32, 0                          // set rMT0
s_cmpk_gt_u32 s32, 0x0                             // rMT0 > 0
s_cbranch_scc1 GW_B0_E1_135                        // jump if edges required
s_and_b32 s32, 63, s[sgprSizeJ]                    // s32 = s[sgprSizeJ] % 64
s_add_u32 s33, -0x1, s[sgprNumWorkGroups1]         // 
s_cmp_ge_u32 s[sgprWorkGroup1], s33                // wg1 >= nwg1-1
s_cselect_b32 s32, s32, 0                          // set rMT1
s_cmpk_gt_u32 s32, 0x0                             // rMT1 > 0
s_cbranch_scc1 GW_B0_E1_135                        // jump if edges required
GW_B0_E0_132:

/* edge=0, allocate 2 sgpr. perBatchTmpS=2 perBatchMaskS=0 perElementMaskS=0 elementsPerBatch=60 */
/* optSingleColVgpr=1 optSharedColVgpr=0 optSGPRUsage=BufferLoad_Mask optSrdIncForRow=1 */

/******************************************/
/* Global Write Alpha Batch #0 (d1,d0,vc1,vc0) = */
/*    (0,0,0,0:vw4); (0,1,0,0:vw4); (0,2,0,0:vw4); (0,3,0,0:vw4); (0,4,0,0:vw4); (0,5,0,0:vw4); (0,6,0,0:vw4); (0,7,0,0:vw4); (0,8,0,0:vw4); (0,9,0,0:vw4); (0,10,0,0:vw4); (0,11,0,0:vw4) */
/******************************************/

/* calc coords, apply mask, and issue loads (if necessary) */
/* (d1,vc1,d0,vc0)=(0,0,0,0) */
/* (d1,vc1,d0,vc0)=(0,0,1,0) */
/* (d1,vc1,d0,vc0)=(0,0,2,0) */
/* (d1,vc1,d0,vc0)=(0,0,3,0) */
/* (d1,vc1,d0,vc0)=(0,0,4,0) */
/* (d1,vc1,d0,vc0)=(0,0,5,0) */
/* (d1,vc1,d0,vc0)=(0,0,6,0) */
/* (d1,vc1,d0,vc0)=(0,0,7,0) */
/* (d1,vc1,d0,vc0)=(0,0,8,0) */
/* (d1,vc1,d0,vc0)=(0,0,9,0) */
/* (d1,vc1,d0,vc0)=(0,0,10,0) */
/* (d1,vc1,d0,vc0)=(0,0,11,0) */
_v_add_lshl_u32 v6, v3, v0, 0x2                    // optSingleColVgpr scaleToBpe: sharedAddrVgpr <- cinRowPtr + coord0, scaled by BPE. BSHERE:coord0=0, coord0Vgpr=0
v_accvgpr_read_b32 v[vgprValuC+8], acc0 // copy acc to vreg[0]
v_accvgpr_read_b32 v[vgprValuC+9], acc1 // copy acc to vreg[1]
v_accvgpr_read_b32 v[vgprValuC+10], acc2 // copy acc to vreg[2]
v_accvgpr_read_b32 v[vgprValuC+11], acc3 // copy acc to vreg[3]
v_accvgpr_read_b32 v[vgprValuC+12], acc4 // copy acc to vreg[4]
v_accvgpr_read_b32 v[vgprValuC+13], acc5 // copy acc to vreg[5]
v_accvgpr_read_b32 v[vgprValuC+14], acc6 // copy acc to vreg[6]
v_accvgpr_read_b32 v[vgprValuC+15], acc7 // copy acc to vreg[7]
v_accvgpr_read_b32 v[vgprValuC+16], acc8 // copy acc to vreg[8]
v_accvgpr_read_b32 v[vgprValuC+17], acc9 // copy acc to vreg[9]
v_accvgpr_read_b32 v[vgprValuC+18], acc10 // copy acc to vreg[10]
v_accvgpr_read_b32 v[vgprValuC+19], acc11 // copy acc to vreg[11]
v_accvgpr_read_b32 v[vgprValuC+20], acc12 // copy acc to vreg[12]
v_accvgpr_read_b32 v[vgprValuC+21], acc13 // copy acc to vreg[13]
v_accvgpr_read_b32 v[vgprValuC+22], acc14 // copy acc to vreg[14]
v_accvgpr_read_b32 v[vgprValuC+23], acc15 // copy acc to vreg[15]
v_accvgpr_read_b32 v[vgprValuC+24], acc16 // copy acc to vreg[16]
v_accvgpr_read_b32 v[vgprValuC+25], acc17 // copy acc to vreg[17]
v_accvgpr_read_b32 v[vgprValuC+26], acc18 // copy acc to vreg[18]
v_accvgpr_read_b32 v[vgprValuC+27], acc19 // copy acc to vreg[19]
v_accvgpr_read_b32 v[vgprValuC+28], acc20 // copy acc to vreg[20]
v_accvgpr_read_b32 v[vgprValuC+29], acc21 // copy acc to vreg[21]
v_accvgpr_read_b32 v[vgprValuC+30], acc22 // copy acc to vreg[22]
v_accvgpr_read_b32 v[vgprValuC+31], acc23 // copy acc to vreg[23]
v_accvgpr_read_b32 v[vgprValuC+32], acc24 // copy acc to vreg[24]
v_accvgpr_read_b32 v[vgprValuC+33], acc25 // copy acc to vreg[25]
v_accvgpr_read_b32 v[vgprValuC+34], acc26 // copy acc to vreg[26]
v_accvgpr_read_b32 v[vgprValuC+35], acc27 // copy acc to vreg[27]
v_accvgpr_read_b32 v[vgprValuC+36], acc28 // copy acc to vreg[28]
v_accvgpr_read_b32 v[vgprValuC+37], acc29 // copy acc to vreg[29]
v_accvgpr_read_b32 v[vgprValuC+38], acc30 // copy acc to vreg[30]
v_accvgpr_read_b32 v[vgprValuC+39], acc31 // copy acc to vreg[31]
v_accvgpr_read_b32 v[vgprValuC+40], acc32 // copy acc to vreg[32]
v_accvgpr_read_b32 v[vgprValuC+41], acc33 // copy acc to vreg[33]
v_accvgpr_read_b32 v[vgprValuC+42], acc34 // copy acc to vreg[34]
v_accvgpr_read_b32 v[vgprValuC+43], acc35 // copy acc to vreg[35]
v_accvgpr_read_b32 v[vgprValuC+44], acc36 // copy acc to vreg[36]
v_accvgpr_read_b32 v[vgprValuC+45], acc37 // copy acc to vreg[37]
v_accvgpr_read_b32 v[vgprValuC+46], acc38 // copy acc to vreg[38]
v_accvgpr_read_b32 v[vgprValuC+47], acc39 // copy acc to vreg[39]
v_accvgpr_read_b32 v[vgprValuC+48], acc40 // copy acc to vreg[40]
v_accvgpr_read_b32 v[vgprValuC+49], acc41 // copy acc to vreg[41]
v_accvgpr_read_b32 v[vgprValuC+50], acc42 // copy acc to vreg[42]
v_accvgpr_read_b32 v[vgprValuC+51], acc43 // copy acc to vreg[43]
v_accvgpr_read_b32 v[vgprValuC+60], acc44 // copy acc to vreg[44]
v_accvgpr_read_b32 v[vgprValuC+61], acc45 // copy acc to vreg[45]
v_accvgpr_read_b32 v[vgprValuC+62], acc46 // copy acc to vreg[46]
v_accvgpr_read_b32 v[vgprValuC+63], acc47 // copy acc to vreg[47]
s_nop 1                                            // 2 wait states required before reading vgpr

/* rC *= alpha batchElements=[(0, 0, 0, 0), (0, 1, 0, 0), (0, 2, 0, 0), (0, 3, 0, 0), (0, 4, 0, 0), (0, 5, 0, 0), (0, 6, 0, 0), (0, 7, 0, 0), (0, 8, 0, 0), (0, 9, 0, 0), (0, 10, 0, 0), (0, 11, 0, 0)] */
v_mul_f32 v[vgprValuC+8], s[sgprAlpha], v[vgprValuC+8] // *= alpha
v_mul_f32 v[vgprValuC+9], s[sgprAlpha], v[vgprValuC+9] // *= alpha
	;; [unrolled: 1-line block ×48, first 2 shown]

/* apply mask, calc new C and issue writes */
_buffer_store_b128 v[8:11], v6, s[sgprSrdD:sgprSrdD+3], 0, offen, offset:0 // store D
_buffer_store_b128 v[12:15], v6, s[sgprSrdD:sgprSrdD+3], 0, offen, offset:32 // store D
	;; [unrolled: 1-line block ×12, first 2 shown]
s_nop 0                                            // 1 wait state required when next inst writes vgprs held by previous dwordx4 store inst
s_branch label_GW_End_143                          // jump to end
GW_B0_E1_135:

/* edge=1, allocate 6 sgpr. perBatchTmpS=4 perBatchMaskS=2 perElementMaskS=0 elementsPerBatch=123 */
/* optSingleColVgpr=0 optSharedColVgpr=0 optSGPRUsage=BufferLoad_Edge_Mask optSrdIncForRow=0 */

/******************************************/
/* Global Write Alpha Edge Batch #0 (d1,d0,vc1,vc0) = */
/*    (0,0,0,0:vw1); (0,0,0,1:vw1); (0,0,0,2:vw1); (0,0,0,3:vw1); (0,1,0,0:vw1); (0,1,0,1:vw1); (0,1,0,2:vw1); (0,1,0,3:vw1); (0,2,0,0:vw1); (0,2,0,1:vw1); (0,2,0,2:vw1); (0,2,0,3:vw1); (0,3,0,0:vw1); (0,3,0,1:vw1); (0,3,0,2:vw1); (0,3,0,3:vw1); (0,4,0,0:vw1); (0,4,0,1:vw1); (0,4,0,2:vw1); (0,4,0,3:vw1); (0,5,0,0:vw1); (0,5,0,1:vw1); (0,5,0,2:vw1); (0,5,0,3:vw1); (0,6,0,0:vw1); (0,6,0,1:vw1); (0,6,0,2:vw1); (0,6,0,3:vw1); (0,7,0,0:vw1); (0,7,0,1:vw1); (0,7,0,2:vw1); (0,7,0,3:vw1); (0,8,0,0:vw1); (0,8,0,1:vw1); (0,8,0,2:vw1); (0,8,0,3:vw1); (0,9,0,0:vw1); (0,9,0,1:vw1); (0,9,0,2:vw1); (0,9,0,3:vw1); (0,10,0,0:vw1); (0,10,0,1:vw1); (0,10,0,2:vw1); (0,10,0,3:vw1); (0,11,0,0:vw1); (0,11,0,1:vw1); (0,11,0,2:vw1); (0,11,0,3:vw1) */
/******************************************/

/* calc coords, apply mask, and issue loads (if necessary) */
/* (d1,vc1,d0,vc0)=(0,0,0,0) */
v_cmp_lt_u32 s[52:53], v0, s[sgprSizeI]            // coord0 < size0
v_cmp_lt_u32 s[56:57], v1, s[sgprSizeJ]            // coord1 < size1
s_and_b64 s[56:57], s[52:53], s[56:57]             // in0 && in1
_v_add_lshl_u32 v6, v3, v0, 0x2                    // scaleToBpe: accumulate d0 lower and *= bpe into Cin addr
v_cndmask_b32 v6, -1, v6, s[56:57]                 // LDD clip if OOB. offset
/* (d1,vc1,d0,vc0)=(0,0,0,1) */
_v_add_co_u32 v4, vcc, v0, 1                       // coord0.1: coord0 += d0*sg0*VW + vc0
v_cmp_lt_u32 s[52:53], v4, s[sgprSizeI]            // coord0 < size0
v_cmp_lt_u32 s[56:57], v1, s[sgprSizeJ]            // coord1 < size1
s_and_b64 s[56:57], s[52:53], s[56:57]             // in0 && in1
_v_add_lshl_u32 v8, v3, v4, 0x2                    // scaleToBpe: accumulate d0 lower and *= bpe into Cin addr
v_cndmask_b32 v8, -1, v8, s[56:57]                 // LDD clip if OOB. offset
/* (d1,vc1,d0,vc0)=(0,0,0,2) */
_v_add_co_u32 v4, vcc, v0, 2                       // coord0.1: coord0 += d0*sg0*VW + vc0
v_cmp_lt_u32 s[52:53], v4, s[sgprSizeI]            // coord0 < size0
v_cmp_lt_u32 s[56:57], v1, s[sgprSizeJ]            // coord1 < size1
s_and_b64 s[56:57], s[52:53], s[56:57]             // in0 && in1
_v_add_lshl_u32 v10, v3, v4, 0x2                   // scaleToBpe: accumulate d0 lower and *= bpe into Cin addr
v_cndmask_b32 v10, -1, v10, s[56:57]               // LDD clip if OOB. offset
/* (d1,vc1,d0,vc0)=(0,0,0,3) */
_v_add_co_u32 v4, vcc, v0, 3                       // coord0.1: coord0 += d0*sg0*VW + vc0
v_cmp_lt_u32 s[52:53], v4, s[sgprSizeI]            // coord0 < size0
v_cmp_lt_u32 s[56:57], v1, s[sgprSizeJ]            // coord1 < size1
s_and_b64 s[56:57], s[52:53], s[56:57]             // in0 && in1
_v_add_lshl_u32 v12, v3, v4, 0x2                   // scaleToBpe: accumulate d0 lower and *= bpe into Cin addr
v_cndmask_b32 v12, -1, v12, s[56:57]               // LDD clip if OOB. offset
	;; [unrolled: 7-line block ×4, first 2 shown]
/* (d1,vc1,d0,vc0)=(0,0,1,2) */
_v_add_co_u32 v4, vcc, v0, 10                      // coord0.1: coord0 += d0*sg0*VW + vc0
v_cmp_lt_u32 s[52:53], v4, s[sgprSizeI]            // coord0 < size0
v_cmp_lt_u32 s[56:57], v1, s[sgprSizeJ]            // coord1 < size1
s_and_b64 s[56:57], s[52:53], s[56:57]             // in0 && in1
_v_add_lshl_u32 v18, v3, v4, 0x2                   // scaleToBpe: accumulate d0 lower and *= bpe into Cin addr
v_cndmask_b32 v18, -1, v18, s[56:57]               // LDD clip if OOB. offset
/* (d1,vc1,d0,vc0)=(0,0,1,3) */
_v_add_co_u32 v4, vcc, v0, 11                      // coord0.1: coord0 += d0*sg0*VW + vc0
v_cmp_lt_u32 s[52:53], v4, s[sgprSizeI]            // coord0 < size0
v_cmp_lt_u32 s[56:57], v1, s[sgprSizeJ]            // coord1 < size1
s_and_b64 s[56:57], s[52:53], s[56:57]             // in0 && in1
_v_add_lshl_u32 v20, v3, v4, 0x2                   // scaleToBpe: accumulate d0 lower and *= bpe into Cin addr
v_cndmask_b32 v20, -1, v20, s[56:57]               // LDD clip if OOB. offset
	;; [unrolled: 7-line block ×11, first 2 shown]
/* (d1,vc1,d0,vc0)=(0,0,4,1) */
s_mov_b32 s52, 65                                  // coordOffset0 d0=4 vc0=1
_v_add_co_u32 v4, vcc, v0, s52                     // coord0.2: coord0 += d0*sg0*VW + vc0
v_cmp_lt_u32 s[52:53], v4, s[sgprSizeI]            // coord0 < size0
v_cmp_lt_u32 s[56:57], v1, s[sgprSizeJ]            // coord1 < size1
s_and_b64 s[56:57], s[52:53], s[56:57]             // in0 && in1
_v_add_lshl_u32 v40, v3, v4, 0x2                   // scaleToBpe: accumulate d0 lower and *= bpe into Cin addr
v_cndmask_b32 v40, -1, v40, s[56:57]               // LDD clip if OOB. offset
/* (d1,vc1,d0,vc0)=(0,0,4,2) */
s_mov_b32 s52, 66                                  // coordOffset0 d0=4 vc0=2
_v_add_co_u32 v4, vcc, v0, s52                     // coord0.2: coord0 += d0*sg0*VW + vc0
v_cmp_lt_u32 s[52:53], v4, s[sgprSizeI]            // coord0 < size0
v_cmp_lt_u32 s[56:57], v1, s[sgprSizeJ]            // coord1 < size1
s_and_b64 s[56:57], s[52:53], s[56:57]             // in0 && in1
_v_add_lshl_u32 v42, v3, v4, 0x2                   // scaleToBpe: accumulate d0 lower and *= bpe into Cin addr
v_cndmask_b32 v42, -1, v42, s[56:57]               // LDD clip if OOB. offset
	;; [unrolled: 8-line block ×15, first 2 shown]
/* (d1,vc1,d0,vc0)=(0,0,8,0) */
s_mov_b32 s52, 128                                 // coordOffset0 d0=8 vc0=0
_v_add_co_u32 v4, vcc, v0, s52                     // coord0.2: coord0 += d0*sg0*VW + vc0
v_cmp_lt_u32 s[52:53], v4, s[sgprSizeI]            // coord0 < size0
v_cmp_lt_u32 s[56:57], v1, s[sgprSizeJ]            // coord1 < size1
s_and_b64 s[56:57], s[52:53], s[56:57]             // in0 && in1
_v_add_lshl_u32 v73, v3, v4, 0x2                   // scaleToBpe: accumulate d0 lower and *= bpe into Cin addr
v_cndmask_b32 v73, -1, v73, s[56:57]               // LDD clip if OOB. offset
/* (d1,vc1,d0,vc0)=(0,0,8,1) */
s_mov_b32 s52, 129                                 // coordOffset0 d0=8 vc0=1
_v_add_co_u32 v4, vcc, v0, s52                     // coord0.2: coord0 += d0*sg0*VW + vc0
v_cmp_lt_u32 s[52:53], v4, s[sgprSizeI]            // coord0 < size0
v_cmp_lt_u32 s[56:57], v1, s[sgprSizeJ]            // coord1 < size1
s_and_b64 s[56:57], s[52:53], s[56:57]             // in0 && in1
_v_add_lshl_u32 v75, v3, v4, 0x2                   // scaleToBpe: accumulate d0 lower and *= bpe into Cin addr
v_cndmask_b32 v75, -1, v75, s[56:57]               // LDD clip if OOB. offset
	;; [unrolled: 8-line block ×14, first 2 shown]
/* (d1,vc1,d0,vc0)=(0,0,11,2) */
s_mov_b32 s52, 154                                 // coordOffset0 d0=11 vc0=2
_v_add_co_u32 v4, vcc, v0, s52                     // coord0.2: coord0 += d0*sg0*VW + vc0
v_cmp_lt_u32 s[52:53], v4, s[sgprSizeI]            // coord0 < size0
v_cmp_lt_u32 s[56:57], v1, s[sgprSizeJ]            // coord1 < size1
s_and_b64 s[56:57], s[52:53], s[56:57]             // in0 && in1
_v_add_lshl_u32 v101, v3, v4, 0x2                  // scaleToBpe: accumulate d0 lower and *= bpe into Cin addr
v_cndmask_b32 v101, -1, v101, s[56:57]             // LDD clip if OOB. offset
/* (d1,vc1,d0,vc0)=(0,0,11,3) */
s_mov_b32 s52, 155                                 // coordOffset0 d0=11 vc0=3
_v_add_co_u32 v4, vcc, v0, s52                     // coord0.2: coord0 += d0*sg0*VW + vc0
v_cmp_lt_u32 s[52:53], v4, s[sgprSizeI]            // coord0 < size0
v_cmp_lt_u32 s[56:57], v1, s[sgprSizeJ]            // coord1 < size1
s_and_b64 s[56:57], s[52:53], s[56:57]             // in0 && in1
_v_add_lshl_u32 v103, v3, v4, 0x2                  // scaleToBpe: accumulate d0 lower and *= bpe into Cin addr
v_cndmask_b32 v103, -1, v103, s[56:57]             // LDD clip if OOB. offset
v_accvgpr_read_b32 v[vgprValuC+7], acc0 // copy acc to vreg[0]
v_accvgpr_read_b32 v[vgprValuC+9], acc1 // copy acc to vreg[1]
v_accvgpr_read_b32 v[vgprValuC+11], acc2 // copy acc to vreg[2]
v_accvgpr_read_b32 v[vgprValuC+13], acc3 // copy acc to vreg[3]
v_accvgpr_read_b32 v[vgprValuC+15], acc4 // copy acc to vreg[4]
v_accvgpr_read_b32 v[vgprValuC+17], acc5 // copy acc to vreg[5]
v_accvgpr_read_b32 v[vgprValuC+19], acc6 // copy acc to vreg[6]
v_accvgpr_read_b32 v[vgprValuC+21], acc7 // copy acc to vreg[7]
v_accvgpr_read_b32 v[vgprValuC+23], acc8 // copy acc to vreg[8]
v_accvgpr_read_b32 v[vgprValuC+25], acc9 // copy acc to vreg[9]
v_accvgpr_read_b32 v[vgprValuC+27], acc10 // copy acc to vreg[10]
v_accvgpr_read_b32 v[vgprValuC+29], acc11 // copy acc to vreg[11]
v_accvgpr_read_b32 v[vgprValuC+31], acc12 // copy acc to vreg[12]
v_accvgpr_read_b32 v[vgprValuC+33], acc13 // copy acc to vreg[13]
v_accvgpr_read_b32 v[vgprValuC+35], acc14 // copy acc to vreg[14]
v_accvgpr_read_b32 v[vgprValuC+37], acc15 // copy acc to vreg[15]
v_accvgpr_read_b32 v[vgprValuC+39], acc16 // copy acc to vreg[16]
v_accvgpr_read_b32 v[vgprValuC+41], acc17 // copy acc to vreg[17]
v_accvgpr_read_b32 v[vgprValuC+43], acc18 // copy acc to vreg[18]
v_accvgpr_read_b32 v[vgprValuC+45], acc19 // copy acc to vreg[19]
v_accvgpr_read_b32 v[vgprValuC+47], acc20 // copy acc to vreg[20]
v_accvgpr_read_b32 v[vgprValuC+49], acc21 // copy acc to vreg[21]
v_accvgpr_read_b32 v[vgprValuC+51], acc22 // copy acc to vreg[22]
v_accvgpr_read_b32 v[vgprValuC+53], acc23 // copy acc to vreg[23]
v_accvgpr_read_b32 v[vgprValuC+58], acc24 // copy acc to vreg[24]
v_accvgpr_read_b32 v[vgprValuC+60], acc25 // copy acc to vreg[25]
v_accvgpr_read_b32 v[vgprValuC+62], acc26 // copy acc to vreg[26]
v_accvgpr_read_b32 v[vgprValuC+64], acc27 // copy acc to vreg[27]
v_accvgpr_read_b32 v[vgprValuC+66], acc28 // copy acc to vreg[28]
v_accvgpr_read_b32 v[vgprValuC+68], acc29 // copy acc to vreg[29]
v_accvgpr_read_b32 v[vgprValuC+70], acc30 // copy acc to vreg[30]
v_accvgpr_read_b32 v[vgprValuC+72], acc31 // copy acc to vreg[31]
v_accvgpr_read_b32 v[vgprValuC+74], acc32 // copy acc to vreg[32]
v_accvgpr_read_b32 v[vgprValuC+76], acc33 // copy acc to vreg[33]
v_accvgpr_read_b32 v[vgprValuC+78], acc34 // copy acc to vreg[34]
v_accvgpr_read_b32 v[vgprValuC+80], acc35 // copy acc to vreg[35]
v_accvgpr_read_b32 v[vgprValuC+82], acc36 // copy acc to vreg[36]
v_accvgpr_read_b32 v[vgprValuC+84], acc37 // copy acc to vreg[37]
v_accvgpr_read_b32 v[vgprValuC+86], acc38 // copy acc to vreg[38]
v_accvgpr_read_b32 v[vgprValuC+88], acc39 // copy acc to vreg[39]
v_accvgpr_read_b32 v[vgprValuC+90], acc40 // copy acc to vreg[40]
v_accvgpr_read_b32 v[vgprValuC+92], acc41 // copy acc to vreg[41]
v_accvgpr_read_b32 v[vgprValuC+94], acc42 // copy acc to vreg[42]
v_accvgpr_read_b32 v[vgprValuC+96], acc43 // copy acc to vreg[43]
v_accvgpr_read_b32 v[vgprValuC+98], acc44 // copy acc to vreg[44]
v_accvgpr_read_b32 v[vgprValuC+100], acc45 // copy acc to vreg[45]
v_accvgpr_read_b32 v[vgprValuC+102], acc46 // copy acc to vreg[46]
v_accvgpr_read_b32 v[vgprValuC+104], acc47 // copy acc to vreg[47]
s_nop 1                                            // 2 wait states required before reading vgpr

/* rC *= alpha batchElements=[(0, 0, 0, 0), (0, 0, 0, 1), (0, 0, 0, 2), (0, 0, 0, 3), (0, 1, 0, 0), (0, 1, 0, 1), (0, 1, 0, 2), (0, 1, 0, 3), (0, 2, 0, 0), (0, 2, 0, 1), (0, 2, 0, 2), (0, 2, 0, 3), (0, 3, 0, 0), (0, 3, 0, 1), (0, 3, 0, 2), (0, 3, 0, 3), (0, 4, 0, 0), (0, 4, 0, 1), (0, 4, 0, 2), (0, 4, 0, 3), (0, 5, 0, 0), (0, 5, 0, 1), (0, 5, 0, 2), (0, 5, 0, 3), (0, 6, 0, 0), (0, 6, 0, 1), (0, 6, 0, 2), (0, 6, 0, 3), (0, 7, 0, 0), (0, 7, 0, 1), (0, 7, 0, 2), (0, 7, 0, 3), (0, 8, 0, 0), (0, 8, 0, 1), (0, 8, 0, 2), (0, 8, 0, 3), (0, 9, 0, 0), (0, 9, 0, 1), (0, 9, 0, 2), (0, 9, 0, 3), (0, 10, 0, 0), (0, 10, 0, 1), (0, 10, 0, 2), (0, 10, 0, 3), (0, 11, 0, 0), (0, 11, 0, 1), (0, 11, 0, 2), (0, 11, 0, 3)] */
v_mul_f32 v[vgprValuC+7], s[sgprAlpha], v[vgprValuC+7] // *= alpha
v_mul_f32 v[vgprValuC+9], s[sgprAlpha], v[vgprValuC+9] // *= alpha
	;; [unrolled: 1-line block ×48, first 2 shown]

/* apply mask, calc new C and issue writes */
_buffer_store_b32 v7, v6, s[sgprSrdD:sgprSrdD+3], 0, offen, offset:0 // store D
_buffer_store_b32 v9, v8, s[sgprSrdD:sgprSrdD+3], 0, offen, offset:0 // store D
	;; [unrolled: 1-line block ×48, first 2 shown]
s_nop 0                                            // 1 wait state required when next inst writes vgprs held by previous dwordx4 store inst
s_branch label_GW_End_143                          // jump to end
GW_Beta_144:
s_mov_b32 s35, 0x0                                 // STATIC_DIV: divisior=192
s_mul_i32 s34, 0x2aa, s[sgprSizeI]                 // tmp1 = dividend * magic hi
s_lshl_b64 s[34:35], s[34:35], 0x10                // left shift 16 bits
s_mul_i32 s33, s[sgprSizeI], 0xaaab                // tmp0 = dividend * magic lo
s_add_u32 s34, s33, s34                            // add lo
s_addc_u32 s35, s35, 0x0                           // add hi
s_lshr_b64 s[34:35], s[34:35], 0x21                // tmp1 = (dividend * magic) << shift
s_mov_b32 s33, s34                                 // quotient
s_mul_i32 s34, s33, 0xc0                           // quotient*divisor
s_sub_u32 s32, s[sgprSizeI], s34                   // rReg = dividend - quotient*divisor
s_add_u32 s33, -0x1, s[sgprNumWorkGroups0]         // 
s_cmp_ge_u32 s[sgprWorkGroup0], s33                // wg0 >= nwg0-1 ?
s_cselect_b32 s32, s32, 0                          // set rMT0
s_cmpk_gt_u32 s32, 0x0                             // rMT0 > 0
s_cbranch_scc1 GW_B1_E1_142                        // jump if edges required
s_and_b32 s32, 63, s[sgprSizeJ]                    // s32 = s[sgprSizeJ] % 64
s_add_u32 s33, -0x1, s[sgprNumWorkGroups1]         // 
s_cmp_ge_u32 s[sgprWorkGroup1], s33                // wg1 >= nwg1-1
s_cselect_b32 s32, s32, 0                          // set rMT1
s_cmpk_gt_u32 s32, 0x0                             // rMT1 > 0
s_cbranch_scc1 GW_B1_E1_142                        // jump if edges required
GW_B1_E0_139:

/* edge=0, allocate 2 sgpr. perBatchTmpS=2 perBatchMaskS=0 perElementMaskS=0 elementsPerBatch=29 */
/* optSingleColVgpr=1 optSharedColVgpr=0 optSGPRUsage=BufferLoad_Mask optSrdIncForRow=1 */

/******************************************/
/* Global Write Alpha Beta Batch #0 (d1,d0,vc1,vc0) = */
/*    (0,0,0,0:vw4); (0,1,0,0:vw4); (0,2,0,0:vw4); (0,3,0,0:vw4); (0,4,0,0:vw4); (0,5,0,0:vw4); (0,6,0,0:vw4); (0,7,0,0:vw4); (0,8,0,0:vw4); (0,9,0,0:vw4); (0,10,0,0:vw4); (0,11,0,0:vw4) */
/******************************************/

/* calc coords, apply mask, and issue loads (if necessary) */
/* (d1,vc1,d0,vc0)=(0,0,0,0) */
_v_add_lshl_u32 v7, v2, v0, 0x2                    // optSingleColVgpr scaleToBpe: sharedAddrVgpr <- cinRowPtr + coord0, scaled by BPE. BSHERE:coord0=0, coord0Vgpr=0
_buffer_load_b128 v[8:11], v7, s[sgprSrdC:sgprSrdC+3], 0, offen offset:0 // load C for beta calc
/* (d1,vc1,d0,vc0)=(0,0,1,0) */
_buffer_load_b128 v[16:19], v7, s[sgprSrdC:sgprSrdC+3], 0, offen offset:32 // load C for beta calc
/* (d1,vc1,d0,vc0)=(0,0,2,0) */
	;; [unrolled: 2-line block ×11, first 2 shown]
_buffer_load_b128 v[104:107], v7, s[sgprSrdC:sgprSrdC+3], 0, offen offset:608 // load C for beta calc
_v_add_lshl_u32 v6, v3, v0, 0x2                    // optSingleColVgpr scaleToBpe: sharedAddrVgpr <- cinRowPtr + coord0, scaled by BPE. BSHERE:coord0=0, coord0Vgpr=0
v_accvgpr_read_b32 v[vgprValuC+12], acc0 // copy acc to vreg[0]
v_accvgpr_read_b32 v[vgprValuC+13], acc1 // copy acc to vreg[1]
v_accvgpr_read_b32 v[vgprValuC+14], acc2 // copy acc to vreg[2]
v_accvgpr_read_b32 v[vgprValuC+15], acc3 // copy acc to vreg[3]
v_accvgpr_read_b32 v[vgprValuC+20], acc4 // copy acc to vreg[4]
v_accvgpr_read_b32 v[vgprValuC+21], acc5 // copy acc to vreg[5]
v_accvgpr_read_b32 v[vgprValuC+22], acc6 // copy acc to vreg[6]
v_accvgpr_read_b32 v[vgprValuC+23], acc7 // copy acc to vreg[7]
v_accvgpr_read_b32 v[vgprValuC+28], acc8 // copy acc to vreg[8]
v_accvgpr_read_b32 v[vgprValuC+29], acc9 // copy acc to vreg[9]
v_accvgpr_read_b32 v[vgprValuC+30], acc10 // copy acc to vreg[10]
v_accvgpr_read_b32 v[vgprValuC+31], acc11 // copy acc to vreg[11]
v_accvgpr_read_b32 v[vgprValuC+36], acc12 // copy acc to vreg[12]
v_accvgpr_read_b32 v[vgprValuC+37], acc13 // copy acc to vreg[13]
v_accvgpr_read_b32 v[vgprValuC+38], acc14 // copy acc to vreg[14]
v_accvgpr_read_b32 v[vgprValuC+39], acc15 // copy acc to vreg[15]
v_accvgpr_read_b32 v[vgprValuC+44], acc16 // copy acc to vreg[16]
v_accvgpr_read_b32 v[vgprValuC+45], acc17 // copy acc to vreg[17]
v_accvgpr_read_b32 v[vgprValuC+46], acc18 // copy acc to vreg[18]
v_accvgpr_read_b32 v[vgprValuC+47], acc19 // copy acc to vreg[19]
v_accvgpr_read_b32 v[vgprValuC+60], acc20 // copy acc to vreg[20]
v_accvgpr_read_b32 v[vgprValuC+61], acc21 // copy acc to vreg[21]
v_accvgpr_read_b32 v[vgprValuC+62], acc22 // copy acc to vreg[22]
v_accvgpr_read_b32 v[vgprValuC+63], acc23 // copy acc to vreg[23]
v_accvgpr_read_b32 v[vgprValuC+68], acc24 // copy acc to vreg[24]
v_accvgpr_read_b32 v[vgprValuC+69], acc25 // copy acc to vreg[25]
v_accvgpr_read_b32 v[vgprValuC+70], acc26 // copy acc to vreg[26]
v_accvgpr_read_b32 v[vgprValuC+71], acc27 // copy acc to vreg[27]
v_accvgpr_read_b32 v[vgprValuC+76], acc28 // copy acc to vreg[28]
v_accvgpr_read_b32 v[vgprValuC+77], acc29 // copy acc to vreg[29]
v_accvgpr_read_b32 v[vgprValuC+78], acc30 // copy acc to vreg[30]
v_accvgpr_read_b32 v[vgprValuC+79], acc31 // copy acc to vreg[31]
v_accvgpr_read_b32 v[vgprValuC+84], acc32 // copy acc to vreg[32]
v_accvgpr_read_b32 v[vgprValuC+85], acc33 // copy acc to vreg[33]
v_accvgpr_read_b32 v[vgprValuC+86], acc34 // copy acc to vreg[34]
v_accvgpr_read_b32 v[vgprValuC+87], acc35 // copy acc to vreg[35]
v_accvgpr_read_b32 v[vgprValuC+92], acc36 // copy acc to vreg[36]
v_accvgpr_read_b32 v[vgprValuC+93], acc37 // copy acc to vreg[37]
v_accvgpr_read_b32 v[vgprValuC+94], acc38 // copy acc to vreg[38]
v_accvgpr_read_b32 v[vgprValuC+95], acc39 // copy acc to vreg[39]
v_accvgpr_read_b32 v[vgprValuC+100], acc40 // copy acc to vreg[40]
v_accvgpr_read_b32 v[vgprValuC+101], acc41 // copy acc to vreg[41]
v_accvgpr_read_b32 v[vgprValuC+102], acc42 // copy acc to vreg[42]
v_accvgpr_read_b32 v[vgprValuC+103], acc43 // copy acc to vreg[43]
v_accvgpr_read_b32 v[vgprValuC+108], acc44 // copy acc to vreg[44]
v_accvgpr_read_b32 v[vgprValuC+109], acc45 // copy acc to vreg[45]
v_accvgpr_read_b32 v[vgprValuC+110], acc46 // copy acc to vreg[46]
v_accvgpr_read_b32 v[vgprValuC+111], acc47 // copy acc to vreg[47]
s_nop 1                                            // 2 wait states required before reading vgpr

/* rC *= alpha batchElements=[(0, 0, 0, 0), (0, 1, 0, 0), (0, 2, 0, 0), (0, 3, 0, 0), (0, 4, 0, 0), (0, 5, 0, 0), (0, 6, 0, 0), (0, 7, 0, 0), (0, 8, 0, 0), (0, 9, 0, 0), (0, 10, 0, 0), (0, 11, 0, 0)] */
v_mul_f32 v[vgprValuC+12], s[sgprAlpha], v[vgprValuC+12] // *= alpha
v_mul_f32 v[vgprValuC+13], s[sgprAlpha], v[vgprValuC+13] // *= alpha
	;; [unrolled: 1-line block ×48, first 2 shown]

/* apply mask, calc new C and issue writes */

s_waitcnt vmcnt(11)                                // wait C (interleaved) 11 = 12 - 0 + 0 - 1
_v_mac_f32 v[vgprValuC+12], v8, s[sgprBeta]        // finalSum = sum*alpha + C*beta
_v_mac_f32 v[vgprValuC+13], v9, s[sgprBeta]        // finalSum = sum*alpha + C*beta
_v_mac_f32 v[vgprValuC+14], v10, s[sgprBeta]       // finalSum = sum*alpha + C*beta
_v_mac_f32 v[vgprValuC+15], v11, s[sgprBeta]       // finalSum = sum*alpha + C*beta
_buffer_store_b128 v[12:15], v6, s[sgprSrdD:sgprSrdD+3], 0, offen, offset:0 // store D

s_waitcnt vmcnt(11)                                // wait C (interleaved) 11 = 12 - 1 + 1 - 1
_v_mac_f32 v[vgprValuC+20], v16, s[sgprBeta]       // finalSum = sum*alpha + C*beta
_v_mac_f32 v[vgprValuC+21], v17, s[sgprBeta]       // finalSum = sum*alpha + C*beta
_v_mac_f32 v[vgprValuC+22], v18, s[sgprBeta]       // finalSum = sum*alpha + C*beta
_v_mac_f32 v[vgprValuC+23], v19, s[sgprBeta]       // finalSum = sum*alpha + C*beta
_buffer_store_b128 v[20:23], v6, s[sgprSrdD:sgprSrdD+3], 0, offen, offset:32 // store D

s_waitcnt vmcnt(11)                                // wait C (interleaved) 11 = 12 - 2 + 2 - 1
_v_mac_f32 v[vgprValuC+28], v24, s[sgprBeta]       // finalSum = sum*alpha + C*beta
_v_mac_f32 v[vgprValuC+29], v25, s[sgprBeta]       // finalSum = sum*alpha + C*beta
	;; [unrolled: 7-line block ×9, first 2 shown]
_v_mac_f32 v[vgprValuC+94], v90, s[sgprBeta]       // finalSum = sum*alpha + C*beta
_v_mac_f32 v[vgprValuC+95], v91, s[sgprBeta]       // finalSum = sum*alpha + C*beta
_buffer_store_b128 v[92:95], v6, s[sgprSrdD:sgprSrdD+3], 0, offen, offset:544 // store D

s_waitcnt vmcnt(11)                                // wait C (interleaved) 11 = 12 - 10 + 10 - 1
_v_mac_f32 v[vgprValuC+100], v96, s[sgprBeta]      // finalSum = sum*alpha + C*beta
_v_mac_f32 v[vgprValuC+101], v97, s[sgprBeta]      // finalSum = sum*alpha + C*beta
	;; [unrolled: 1-line block ×4, first 2 shown]
_buffer_store_b128 v[100:103], v6, s[sgprSrdD:sgprSrdD+3], 0, offen, offset:576 // store D

s_waitcnt vmcnt(11)                                // wait C (interleaved) 11 = 12 - 11 + 11 - 1
_v_mac_f32 v[vgprValuC+108], v104, s[sgprBeta]     // finalSum = sum*alpha + C*beta
_v_mac_f32 v[vgprValuC+109], v105, s[sgprBeta]     // finalSum = sum*alpha + C*beta
	;; [unrolled: 1-line block ×4, first 2 shown]
_buffer_store_b128 v[108:111], v6, s[sgprSrdD:sgprSrdD+3], 0, offen, offset:608 // store D
s_nop 0                                            // 1 wait state required when next inst writes vgprs held by previous dwordx4 store inst
s_branch label_GW_End_143                          // jump to end
GW_B1_E1_142:

/* edge=1, allocate 6 sgpr. perBatchTmpS=4 perBatchMaskS=2 perElementMaskS=0 elementsPerBatch=82 */
/* optSingleColVgpr=0 optSharedColVgpr=0 optSGPRUsage=BufferLoad_Edge_Mask optSrdIncForRow=0 */

/******************************************/
/* Global Write Alpha Beta Edge Batch #0 (d1,d0,vc1,vc0) = */
/*    (0,0,0,0:vw1); (0,0,0,1:vw1); (0,0,0,2:vw1); (0,0,0,3:vw1); (0,1,0,0:vw1); (0,1,0,1:vw1); (0,1,0,2:vw1); (0,1,0,3:vw1); (0,2,0,0:vw1); (0,2,0,1:vw1); (0,2,0,2:vw1); (0,2,0,3:vw1); (0,3,0,0:vw1); (0,3,0,1:vw1); (0,3,0,2:vw1); (0,3,0,3:vw1); (0,4,0,0:vw1); (0,4,0,1:vw1); (0,4,0,2:vw1); (0,4,0,3:vw1); (0,5,0,0:vw1); (0,5,0,1:vw1); (0,5,0,2:vw1); (0,5,0,3:vw1); (0,6,0,0:vw1); (0,6,0,1:vw1); (0,6,0,2:vw1); (0,6,0,3:vw1); (0,7,0,0:vw1); (0,7,0,1:vw1); (0,7,0,2:vw1); (0,7,0,3:vw1); (0,8,0,0:vw1); (0,8,0,1:vw1); (0,8,0,2:vw1); (0,8,0,3:vw1); (0,9,0,0:vw1); (0,9,0,1:vw1); (0,9,0,2:vw1); (0,9,0,3:vw1); (0,10,0,0:vw1); (0,10,0,1:vw1); (0,10,0,2:vw1); (0,10,0,3:vw1); (0,11,0,0:vw1); (0,11,0,1:vw1); (0,11,0,2:vw1); (0,11,0,3:vw1) */
/******************************************/

/* calc coords, apply mask, and issue loads (if necessary) */
/* (d1,vc1,d0,vc0)=(0,0,0,0) */
v_cmp_lt_u32 s[52:53], v0, s[sgprSizeI]            // coord0 < size0
v_cmp_lt_u32 s[56:57], v1, s[sgprSizeJ]            // coord1 < size1
s_and_b64 s[56:57], s[52:53], s[56:57]             // in0 && in1
_v_add_lshl_u32 v6, v2, v0, 0x2                    // scaleToBpe: accumulate d0 lower and *= bpe into Cin addr
v_cndmask_b32 v6, -1, v6, s[56:57]                 // LDC clip if OOB. offset
_buffer_load_b32 v7, v6, s[sgprSrdC:sgprSrdC+3], 0, offen offset:0 // load C for beta calc
_v_add_lshl_u32 v6, v3, v0, 0x2                    // scaleToBpe: accumulate d0 lower and *= bpe into Cin addr
v_cndmask_b32 v6, -1, v6, s[56:57]                 // LDD clip if OOB. offset
/* (d1,vc1,d0,vc0)=(0,0,0,1) */
_v_add_co_u32 v4, vcc, v0, 1                       // coord0.1: coord0 += d0*sg0*VW + vc0
v_cmp_lt_u32 s[52:53], v4, s[sgprSizeI]            // coord0 < size0
v_cmp_lt_u32 s[56:57], v1, s[sgprSizeJ]            // coord1 < size1
s_and_b64 s[56:57], s[52:53], s[56:57]             // in0 && in1
_v_add_lshl_u32 v9, v2, v4, 0x2                    // scaleToBpe: accumulate d0 lower and *= bpe into Cin addr
v_cndmask_b32 v9, -1, v9, s[56:57]                 // LDC clip if OOB. offset
_buffer_load_b32 v10, v9, s[sgprSrdC:sgprSrdC+3], 0, offen offset:0 // load C for beta calc
_v_add_lshl_u32 v9, v3, v4, 0x2                    // scaleToBpe: accumulate d0 lower and *= bpe into Cin addr
v_cndmask_b32 v9, -1, v9, s[56:57]                 // LDD clip if OOB. offset
/* (d1,vc1,d0,vc0)=(0,0,0,2) */
_v_add_co_u32 v4, vcc, v0, 2                       // coord0.1: coord0 += d0*sg0*VW + vc0
v_cmp_lt_u32 s[52:53], v4, s[sgprSizeI]            // coord0 < size0
v_cmp_lt_u32 s[56:57], v1, s[sgprSizeJ]            // coord1 < size1
s_and_b64 s[56:57], s[52:53], s[56:57]             // in0 && in1
_v_add_lshl_u32 v12, v2, v4, 0x2                   // scaleToBpe: accumulate d0 lower and *= bpe into Cin addr
v_cndmask_b32 v12, -1, v12, s[56:57]               // LDC clip if OOB. offset
_buffer_load_b32 v13, v12, s[sgprSrdC:sgprSrdC+3], 0, offen offset:0 // load C for beta calc
_v_add_lshl_u32 v12, v3, v4, 0x2                   // scaleToBpe: accumulate d0 lower and *= bpe into Cin addr
v_cndmask_b32 v12, -1, v12, s[56:57]               // LDD clip if OOB. offset
/* (d1,vc1,d0,vc0)=(0,0,0,3) */
_v_add_co_u32 v4, vcc, v0, 3                       // coord0.1: coord0 += d0*sg0*VW + vc0
v_cmp_lt_u32 s[52:53], v4, s[sgprSizeI]            // coord0 < size0
v_cmp_lt_u32 s[56:57], v1, s[sgprSizeJ]            // coord1 < size1
s_and_b64 s[56:57], s[52:53], s[56:57]             // in0 && in1
_v_add_lshl_u32 v15, v2, v4, 0x2                   // scaleToBpe: accumulate d0 lower and *= bpe into Cin addr
v_cndmask_b32 v15, -1, v15, s[56:57]               // LDC clip if OOB. offset
_buffer_load_b32 v16, v15, s[sgprSrdC:sgprSrdC+3], 0, offen offset:0 // load C for beta calc
_v_add_lshl_u32 v15, v3, v4, 0x2                   // scaleToBpe: accumulate d0 lower and *= bpe into Cin addr
v_cndmask_b32 v15, -1, v15, s[56:57]               // LDD clip if OOB. offset
	;; [unrolled: 10-line block ×4, first 2 shown]
/* (d1,vc1,d0,vc0)=(0,0,1,2) */
_v_add_co_u32 v4, vcc, v0, 10                      // coord0.1: coord0 += d0*sg0*VW + vc0
v_cmp_lt_u32 s[52:53], v4, s[sgprSizeI]            // coord0 < size0
v_cmp_lt_u32 s[56:57], v1, s[sgprSizeJ]            // coord1 < size1
s_and_b64 s[56:57], s[52:53], s[56:57]             // in0 && in1
_v_add_lshl_u32 v24, v2, v4, 0x2                   // scaleToBpe: accumulate d0 lower and *= bpe into Cin addr
v_cndmask_b32 v24, -1, v24, s[56:57]               // LDC clip if OOB. offset
_buffer_load_b32 v25, v24, s[sgprSrdC:sgprSrdC+3], 0, offen offset:0 // load C for beta calc
_v_add_lshl_u32 v24, v3, v4, 0x2                   // scaleToBpe: accumulate d0 lower and *= bpe into Cin addr
v_cndmask_b32 v24, -1, v24, s[56:57]               // LDD clip if OOB. offset
/* (d1,vc1,d0,vc0)=(0,0,1,3) */
_v_add_co_u32 v4, vcc, v0, 11                      // coord0.1: coord0 += d0*sg0*VW + vc0
v_cmp_lt_u32 s[52:53], v4, s[sgprSizeI]            // coord0 < size0
v_cmp_lt_u32 s[56:57], v1, s[sgprSizeJ]            // coord1 < size1
s_and_b64 s[56:57], s[52:53], s[56:57]             // in0 && in1
_v_add_lshl_u32 v27, v2, v4, 0x2                   // scaleToBpe: accumulate d0 lower and *= bpe into Cin addr
v_cndmask_b32 v27, -1, v27, s[56:57]               // LDC clip if OOB. offset
_buffer_load_b32 v28, v27, s[sgprSrdC:sgprSrdC+3], 0, offen offset:0 // load C for beta calc
_v_add_lshl_u32 v27, v3, v4, 0x2                   // scaleToBpe: accumulate d0 lower and *= bpe into Cin addr
v_cndmask_b32 v27, -1, v27, s[56:57]               // LDD clip if OOB. offset
	;; [unrolled: 10-line block ×11, first 2 shown]
/* (d1,vc1,d0,vc0)=(0,0,4,1) */
s_mov_b32 s52, 65                                  // coordOffset0 d0=4 vc0=1
_v_add_co_u32 v4, vcc, v0, s52                     // coord0.2: coord0 += d0*sg0*VW + vc0
v_cmp_lt_u32 s[52:53], v4, s[sgprSizeI]            // coord0 < size0
v_cmp_lt_u32 s[56:57], v1, s[sgprSizeJ]            // coord1 < size1
s_and_b64 s[56:57], s[52:53], s[56:57]             // in0 && in1
_v_add_lshl_u32 v60, v2, v4, 0x2                   // scaleToBpe: accumulate d0 lower and *= bpe into Cin addr
v_cndmask_b32 v60, -1, v60, s[56:57]               // LDC clip if OOB. offset
_buffer_load_b32 v61, v60, s[sgprSrdC:sgprSrdC+3], 0, offen offset:0 // load C for beta calc
_v_add_lshl_u32 v60, v3, v4, 0x2                   // scaleToBpe: accumulate d0 lower and *= bpe into Cin addr
v_cndmask_b32 v60, -1, v60, s[56:57]               // LDD clip if OOB. offset
/* (d1,vc1,d0,vc0)=(0,0,4,2) */
s_mov_b32 s52, 66                                  // coordOffset0 d0=4 vc0=2
_v_add_co_u32 v4, vcc, v0, s52                     // coord0.2: coord0 += d0*sg0*VW + vc0
v_cmp_lt_u32 s[52:53], v4, s[sgprSizeI]            // coord0 < size0
v_cmp_lt_u32 s[56:57], v1, s[sgprSizeJ]            // coord1 < size1
s_and_b64 s[56:57], s[52:53], s[56:57]             // in0 && in1
_v_add_lshl_u32 v63, v2, v4, 0x2                   // scaleToBpe: accumulate d0 lower and *= bpe into Cin addr
v_cndmask_b32 v63, -1, v63, s[56:57]               // LDC clip if OOB. offset
_buffer_load_b32 v64, v63, s[sgprSrdC:sgprSrdC+3], 0, offen offset:0 // load C for beta calc
_v_add_lshl_u32 v63, v3, v4, 0x2                   // scaleToBpe: accumulate d0 lower and *= bpe into Cin addr
v_cndmask_b32 v63, -1, v63, s[56:57]               // LDD clip if OOB. offset
	;; [unrolled: 11-line block ×14, first 2 shown]
/* (d1,vc1,d0,vc0)=(0,0,7,3) */
s_mov_b32 s52, 91                                  // coordOffset0 d0=7 vc0=3
_v_add_co_u32 v4, vcc, v0, s52                     // coord0.2: coord0 += d0*sg0*VW + vc0
v_cmp_lt_u32 s[52:53], v4, s[sgprSizeI]            // coord0 < size0
v_cmp_lt_u32 s[56:57], v1, s[sgprSizeJ]            // coord1 < size1
s_and_b64 s[56:57], s[52:53], s[56:57]             // in0 && in1
_v_add_lshl_u32 v102, v2, v4, 0x2                  // scaleToBpe: accumulate d0 lower and *= bpe into Cin addr
v_cndmask_b32 v102, -1, v102, s[56:57]             // LDC clip if OOB. offset
_buffer_load_b32 v103, v102, s[sgprSrdC:sgprSrdC+3], 0, offen offset:0 // load C for beta calc
_v_add_lshl_u32 v102, v3, v4, 0x2                  // scaleToBpe: accumulate d0 lower and *= bpe into Cin addr
v_cndmask_b32 v102, -1, v102, s[56:57]             // LDD clip if OOB. offset
/* (d1,vc1,d0,vc0)=(0,0,8,0) */
s_mov_b32 s52, 128                                 // coordOffset0 d0=8 vc0=0
_v_add_co_u32 v4, vcc, v0, s52                     // coord0.2: coord0 += d0*sg0*VW + vc0
v_cmp_lt_u32 s[52:53], v4, s[sgprSizeI]            // coord0 < size0
v_cmp_lt_u32 s[56:57], v1, s[sgprSizeJ]            // coord1 < size1
s_and_b64 s[56:57], s[52:53], s[56:57]             // in0 && in1
_v_add_lshl_u32 v105, v2, v4, 0x2                  // scaleToBpe: accumulate d0 lower and *= bpe into Cin addr
v_cndmask_b32 v105, -1, v105, s[56:57]             // LDC clip if OOB. offset
_buffer_load_b32 v106, v105, s[sgprSrdC:sgprSrdC+3], 0, offen offset:0 // load C for beta calc
_v_add_lshl_u32 v105, v3, v4, 0x2                  // scaleToBpe: accumulate d0 lower and *= bpe into Cin addr
v_cndmask_b32 v105, -1, v105, s[56:57]             // LDD clip if OOB. offset
/* (d1,vc1,d0,vc0)=(0,0,8,1) */
s_mov_b32 s52, 129                                 // coordOffset0 d0=8 vc0=1
	;; [unrolled: 11-line block ×16, first 2 shown]
_v_add_co_u32 v4, vcc, v0, s52                     // coord0.2: coord0 += d0*sg0*VW + vc0
v_cmp_lt_u32 s[52:53], v4, s[sgprSizeI]            // coord0 < size0
v_cmp_lt_u32 s[56:57], v1, s[sgprSizeJ]            // coord1 < size1
s_and_b64 s[56:57], s[52:53], s[56:57]             // in0 && in1
_v_add_lshl_u32 v150, v2, v4, 0x2                  // scaleToBpe: accumulate d0 lower and *= bpe into Cin addr
v_cndmask_b32 v150, -1, v150, s[56:57]             // LDC clip if OOB. offset
_buffer_load_b32 v151, v150, s[sgprSrdC:sgprSrdC+3], 0, offen offset:0 // load C for beta calc
_v_add_lshl_u32 v150, v3, v4, 0x2                  // scaleToBpe: accumulate d0 lower and *= bpe into Cin addr
v_cndmask_b32 v150, -1, v150, s[56:57]             // LDD clip if OOB. offset
v_accvgpr_read_b32 v[vgprValuC+8], acc0 // copy acc to vreg[0]
v_accvgpr_read_b32 v[vgprValuC+11], acc1 // copy acc to vreg[1]
v_accvgpr_read_b32 v[vgprValuC+14], acc2 // copy acc to vreg[2]
v_accvgpr_read_b32 v[vgprValuC+17], acc3 // copy acc to vreg[3]
v_accvgpr_read_b32 v[vgprValuC+20], acc4 // copy acc to vreg[4]
v_accvgpr_read_b32 v[vgprValuC+23], acc5 // copy acc to vreg[5]
v_accvgpr_read_b32 v[vgprValuC+26], acc6 // copy acc to vreg[6]
v_accvgpr_read_b32 v[vgprValuC+29], acc7 // copy acc to vreg[7]
v_accvgpr_read_b32 v[vgprValuC+32], acc8 // copy acc to vreg[8]
v_accvgpr_read_b32 v[vgprValuC+35], acc9 // copy acc to vreg[9]
v_accvgpr_read_b32 v[vgprValuC+38], acc10 // copy acc to vreg[10]
v_accvgpr_read_b32 v[vgprValuC+41], acc11 // copy acc to vreg[11]
v_accvgpr_read_b32 v[vgprValuC+44], acc12 // copy acc to vreg[12]
v_accvgpr_read_b32 v[vgprValuC+47], acc13 // copy acc to vreg[13]
v_accvgpr_read_b32 v[vgprValuC+50], acc14 // copy acc to vreg[14]
v_accvgpr_read_b32 v[vgprValuC+53], acc15 // copy acc to vreg[15]
v_accvgpr_read_b32 v[vgprValuC+59], acc16 // copy acc to vreg[16]
v_accvgpr_read_b32 v[vgprValuC+62], acc17 // copy acc to vreg[17]
v_accvgpr_read_b32 v[vgprValuC+65], acc18 // copy acc to vreg[18]
v_accvgpr_read_b32 v[vgprValuC+68], acc19 // copy acc to vreg[19]
v_accvgpr_read_b32 v[vgprValuC+71], acc20 // copy acc to vreg[20]
v_accvgpr_read_b32 v[vgprValuC+74], acc21 // copy acc to vreg[21]
v_accvgpr_read_b32 v[vgprValuC+77], acc22 // copy acc to vreg[22]
v_accvgpr_read_b32 v[vgprValuC+80], acc23 // copy acc to vreg[23]
v_accvgpr_read_b32 v[vgprValuC+83], acc24 // copy acc to vreg[24]
v_accvgpr_read_b32 v[vgprValuC+86], acc25 // copy acc to vreg[25]
v_accvgpr_read_b32 v[vgprValuC+89], acc26 // copy acc to vreg[26]
v_accvgpr_read_b32 v[vgprValuC+92], acc27 // copy acc to vreg[27]
v_accvgpr_read_b32 v[vgprValuC+95], acc28 // copy acc to vreg[28]
v_accvgpr_read_b32 v[vgprValuC+98], acc29 // copy acc to vreg[29]
v_accvgpr_read_b32 v[vgprValuC+101], acc30 // copy acc to vreg[30]
v_accvgpr_read_b32 v[vgprValuC+104], acc31 // copy acc to vreg[31]
v_accvgpr_read_b32 v[vgprValuC+107], acc32 // copy acc to vreg[32]
v_accvgpr_read_b32 v[vgprValuC+110], acc33 // copy acc to vreg[33]
v_accvgpr_read_b32 v[vgprValuC+113], acc34 // copy acc to vreg[34]
v_accvgpr_read_b32 v[vgprValuC+116], acc35 // copy acc to vreg[35]
v_accvgpr_read_b32 v[vgprValuC+119], acc36 // copy acc to vreg[36]
v_accvgpr_read_b32 v[vgprValuC+122], acc37 // copy acc to vreg[37]
v_accvgpr_read_b32 v[vgprValuC+125], acc38 // copy acc to vreg[38]
v_accvgpr_read_b32 v[vgprValuC+128], acc39 // copy acc to vreg[39]
v_accvgpr_read_b32 v[vgprValuC+131], acc40 // copy acc to vreg[40]
v_accvgpr_read_b32 v[vgprValuC+134], acc41 // copy acc to vreg[41]
v_accvgpr_read_b32 v[vgprValuC+137], acc42 // copy acc to vreg[42]
v_accvgpr_read_b32 v[vgprValuC+140], acc43 // copy acc to vreg[43]
v_accvgpr_read_b32 v[vgprValuC+143], acc44 // copy acc to vreg[44]
v_accvgpr_read_b32 v[vgprValuC+146], acc45 // copy acc to vreg[45]
v_accvgpr_read_b32 v[vgprValuC+149], acc46 // copy acc to vreg[46]
v_accvgpr_read_b32 v[vgprValuC+152], acc47 // copy acc to vreg[47]
s_nop 1                                            // 2 wait states required before reading vgpr

/* rC *= alpha batchElements=[(0, 0, 0, 0), (0, 0, 0, 1), (0, 0, 0, 2), (0, 0, 0, 3), (0, 1, 0, 0), (0, 1, 0, 1), (0, 1, 0, 2), (0, 1, 0, 3), (0, 2, 0, 0), (0, 2, 0, 1), (0, 2, 0, 2), (0, 2, 0, 3), (0, 3, 0, 0), (0, 3, 0, 1), (0, 3, 0, 2), (0, 3, 0, 3), (0, 4, 0, 0), (0, 4, 0, 1), (0, 4, 0, 2), (0, 4, 0, 3), (0, 5, 0, 0), (0, 5, 0, 1), (0, 5, 0, 2), (0, 5, 0, 3), (0, 6, 0, 0), (0, 6, 0, 1), (0, 6, 0, 2), (0, 6, 0, 3), (0, 7, 0, 0), (0, 7, 0, 1), (0, 7, 0, 2), (0, 7, 0, 3), (0, 8, 0, 0), (0, 8, 0, 1), (0, 8, 0, 2), (0, 8, 0, 3), (0, 9, 0, 0), (0, 9, 0, 1), (0, 9, 0, 2), (0, 9, 0, 3), (0, 10, 0, 0), (0, 10, 0, 1), (0, 10, 0, 2), (0, 10, 0, 3), (0, 11, 0, 0), (0, 11, 0, 1), (0, 11, 0, 2), (0, 11, 0, 3)] */
v_mul_f32 v[vgprValuC+8], s[sgprAlpha], v[vgprValuC+8] // *= alpha
v_mul_f32 v[vgprValuC+11], s[sgprAlpha], v[vgprValuC+11] // *= alpha
	;; [unrolled: 1-line block ×48, first 2 shown]
s_waitcnt vmcnt(0)                                 // wait C

/* apply mask, calc new C and issue writes */
_v_mac_f32 v[vgprValuC+8], v7, s[sgprBeta]         // finalSum = sum*alpha + C*beta
_buffer_store_b32 v8, v6, s[sgprSrdD:sgprSrdD+3], 0, offen, offset:0 // store D
_v_mac_f32 v[vgprValuC+11], v10, s[sgprBeta]       // finalSum = sum*alpha + C*beta
_buffer_store_b32 v11, v9, s[sgprSrdD:sgprSrdD+3], 0, offen, offset:0 // store D
_v_mac_f32 v[vgprValuC+14], v13, s[sgprBeta]       // finalSum = sum*alpha + C*beta
	;; [unrolled: 2-line block ×29, first 2 shown]
_buffer_store_b32 v98, v96, s[sgprSrdD:sgprSrdD+3], 0, offen, offset:0 // store D
_v_mac_f32 v[vgprValuC+101], v100, s[sgprBeta]     // finalSum = sum*alpha + C*beta
_buffer_store_b32 v101, v99, s[sgprSrdD:sgprSrdD+3], 0, offen, offset:0 // store D
_v_mac_f32 v[vgprValuC+104], v103, s[sgprBeta]     // finalSum = sum*alpha + C*beta
	;; [unrolled: 2-line block ×18, first 2 shown]
_buffer_store_b32 v152, v150, s[sgprSrdD:sgprSrdD+3], 0, offen, offset:0 // store D
s_nop 0                                            // 1 wait state required when next inst writes vgprs held by previous dwordx4 store inst
s_branch label_GW_End_143                          // jump to end
label_GW_End_143:

label_0148:  /// KernelEnd
s_endpgm                                           // Kernel End

